;; amdgpu-corpus repo=ROCm/rocFFT kind=compiled arch=gfx1201 opt=O3
	.text
	.amdgcn_target "amdgcn-amd-amdhsa--gfx1201"
	.amdhsa_code_object_version 6
	.protected	fft_rtc_fwd_len156_factors_3_4_13_wgs_117_tpt_13_dp_op_CI_CI_unitstride_sbrr_C2R_dirReg ; -- Begin function fft_rtc_fwd_len156_factors_3_4_13_wgs_117_tpt_13_dp_op_CI_CI_unitstride_sbrr_C2R_dirReg
	.globl	fft_rtc_fwd_len156_factors_3_4_13_wgs_117_tpt_13_dp_op_CI_CI_unitstride_sbrr_C2R_dirReg
	.p2align	8
	.type	fft_rtc_fwd_len156_factors_3_4_13_wgs_117_tpt_13_dp_op_CI_CI_unitstride_sbrr_C2R_dirReg,@function
fft_rtc_fwd_len156_factors_3_4_13_wgs_117_tpt_13_dp_op_CI_CI_unitstride_sbrr_C2R_dirReg: ; @fft_rtc_fwd_len156_factors_3_4_13_wgs_117_tpt_13_dp_op_CI_CI_unitstride_sbrr_C2R_dirReg
; %bb.0:
	s_load_b128 s[8:11], s[0:1], 0x0
	v_mul_u32_u24_e32 v1, 0x13b2, v0
	s_clause 0x1
	s_load_b128 s[4:7], s[0:1], 0x58
	s_load_b128 s[12:15], s[0:1], 0x18
	v_mov_b32_e32 v5, 0
	v_lshrrev_b32_e32 v3, 16, v1
	v_mov_b32_e32 v1, 0
	v_mov_b32_e32 v2, 0
	s_delay_alu instid0(VALU_DEP_3) | instskip(NEXT) | instid1(VALU_DEP_2)
	v_mad_co_u64_u32 v[3:4], null, ttmp9, 9, v[3:4]
	v_dual_mov_b32 v4, v5 :: v_dual_mov_b32 v61, v2
	s_delay_alu instid0(VALU_DEP_1) | instskip(NEXT) | instid1(VALU_DEP_3)
	v_dual_mov_b32 v60, v1 :: v_dual_mov_b32 v65, v4
	v_mov_b32_e32 v64, v3
	s_wait_kmcnt 0x0
	v_cmp_lt_u64_e64 s2, s[10:11], 2
	s_delay_alu instid0(VALU_DEP_1)
	s_and_b32 vcc_lo, exec_lo, s2
	s_cbranch_vccnz .LBB0_8
; %bb.1:
	s_load_b64 s[2:3], s[0:1], 0x10
	v_dual_mov_b32 v1, 0 :: v_dual_mov_b32 v8, v4
	v_dual_mov_b32 v2, 0 :: v_dual_mov_b32 v7, v3
	s_add_nc_u64 s[16:17], s[14:15], 8
	s_add_nc_u64 s[18:19], s[12:13], 8
	s_mov_b64 s[20:21], 1
	s_delay_alu instid0(VALU_DEP_1)
	v_dual_mov_b32 v61, v2 :: v_dual_mov_b32 v60, v1
	s_wait_kmcnt 0x0
	s_add_nc_u64 s[22:23], s[2:3], 8
	s_mov_b32 s3, 0
.LBB0_2:                                ; =>This Inner Loop Header: Depth=1
	s_load_b64 s[24:25], s[22:23], 0x0
                                        ; implicit-def: $vgpr64_vgpr65
	s_mov_b32 s2, exec_lo
	s_wait_kmcnt 0x0
	v_or_b32_e32 v6, s25, v8
	s_delay_alu instid0(VALU_DEP_1)
	v_cmpx_ne_u64_e32 0, v[5:6]
	s_wait_alu 0xfffe
	s_xor_b32 s26, exec_lo, s2
	s_cbranch_execz .LBB0_4
; %bb.3:                                ;   in Loop: Header=BB0_2 Depth=1
	s_cvt_f32_u32 s2, s24
	s_cvt_f32_u32 s27, s25
	s_sub_nc_u64 s[30:31], 0, s[24:25]
	s_wait_alu 0xfffe
	s_delay_alu instid0(SALU_CYCLE_1) | instskip(SKIP_1) | instid1(SALU_CYCLE_2)
	s_fmamk_f32 s2, s27, 0x4f800000, s2
	s_wait_alu 0xfffe
	v_s_rcp_f32 s2, s2
	s_delay_alu instid0(TRANS32_DEP_1) | instskip(SKIP_1) | instid1(SALU_CYCLE_2)
	s_mul_f32 s2, s2, 0x5f7ffffc
	s_wait_alu 0xfffe
	s_mul_f32 s27, s2, 0x2f800000
	s_wait_alu 0xfffe
	s_delay_alu instid0(SALU_CYCLE_2) | instskip(SKIP_1) | instid1(SALU_CYCLE_2)
	s_trunc_f32 s27, s27
	s_wait_alu 0xfffe
	s_fmamk_f32 s2, s27, 0xcf800000, s2
	s_cvt_u32_f32 s29, s27
	s_wait_alu 0xfffe
	s_delay_alu instid0(SALU_CYCLE_1) | instskip(SKIP_1) | instid1(SALU_CYCLE_2)
	s_cvt_u32_f32 s28, s2
	s_wait_alu 0xfffe
	s_mul_u64 s[34:35], s[30:31], s[28:29]
	s_wait_alu 0xfffe
	s_mul_hi_u32 s37, s28, s35
	s_mul_i32 s36, s28, s35
	s_mul_hi_u32 s2, s28, s34
	s_mul_i32 s33, s29, s34
	s_wait_alu 0xfffe
	s_add_nc_u64 s[36:37], s[2:3], s[36:37]
	s_mul_hi_u32 s27, s29, s34
	s_mul_hi_u32 s38, s29, s35
	s_add_co_u32 s2, s36, s33
	s_wait_alu 0xfffe
	s_add_co_ci_u32 s2, s37, s27
	s_mul_i32 s34, s29, s35
	s_add_co_ci_u32 s35, s38, 0
	s_wait_alu 0xfffe
	s_add_nc_u64 s[34:35], s[2:3], s[34:35]
	s_wait_alu 0xfffe
	v_add_co_u32 v4, s2, s28, s34
	s_delay_alu instid0(VALU_DEP_1) | instskip(SKIP_1) | instid1(VALU_DEP_1)
	s_cmp_lg_u32 s2, 0
	s_add_co_ci_u32 s29, s29, s35
	v_readfirstlane_b32 s28, v4
	s_wait_alu 0xfffe
	s_delay_alu instid0(VALU_DEP_1)
	s_mul_u64 s[30:31], s[30:31], s[28:29]
	s_wait_alu 0xfffe
	s_mul_hi_u32 s35, s28, s31
	s_mul_i32 s34, s28, s31
	s_mul_hi_u32 s2, s28, s30
	s_mul_i32 s33, s29, s30
	s_wait_alu 0xfffe
	s_add_nc_u64 s[34:35], s[2:3], s[34:35]
	s_mul_hi_u32 s27, s29, s30
	s_mul_hi_u32 s28, s29, s31
	s_wait_alu 0xfffe
	s_add_co_u32 s2, s34, s33
	s_add_co_ci_u32 s2, s35, s27
	s_mul_i32 s30, s29, s31
	s_add_co_ci_u32 s31, s28, 0
	s_wait_alu 0xfffe
	s_add_nc_u64 s[30:31], s[2:3], s[30:31]
	s_wait_alu 0xfffe
	v_add_co_u32 v4, s2, v4, s30
	s_delay_alu instid0(VALU_DEP_1) | instskip(SKIP_1) | instid1(VALU_DEP_1)
	s_cmp_lg_u32 s2, 0
	s_add_co_ci_u32 s2, s29, s31
	v_mul_hi_u32 v6, v7, v4
	s_wait_alu 0xfffe
	v_mad_co_u64_u32 v[9:10], null, v7, s2, 0
	v_mad_co_u64_u32 v[11:12], null, v8, v4, 0
	;; [unrolled: 1-line block ×3, first 2 shown]
	s_delay_alu instid0(VALU_DEP_3) | instskip(SKIP_1) | instid1(VALU_DEP_4)
	v_add_co_u32 v4, vcc_lo, v6, v9
	s_wait_alu 0xfffd
	v_add_co_ci_u32_e32 v6, vcc_lo, 0, v10, vcc_lo
	s_delay_alu instid0(VALU_DEP_2) | instskip(SKIP_1) | instid1(VALU_DEP_2)
	v_add_co_u32 v4, vcc_lo, v4, v11
	s_wait_alu 0xfffd
	v_add_co_ci_u32_e32 v4, vcc_lo, v6, v12, vcc_lo
	s_wait_alu 0xfffd
	v_add_co_ci_u32_e32 v6, vcc_lo, 0, v14, vcc_lo
	s_delay_alu instid0(VALU_DEP_2) | instskip(SKIP_1) | instid1(VALU_DEP_2)
	v_add_co_u32 v4, vcc_lo, v4, v13
	s_wait_alu 0xfffd
	v_add_co_ci_u32_e32 v6, vcc_lo, 0, v6, vcc_lo
	s_delay_alu instid0(VALU_DEP_2) | instskip(SKIP_1) | instid1(VALU_DEP_3)
	v_mul_lo_u32 v11, s25, v4
	v_mad_co_u64_u32 v[9:10], null, s24, v4, 0
	v_mul_lo_u32 v12, s24, v6
	s_delay_alu instid0(VALU_DEP_2) | instskip(NEXT) | instid1(VALU_DEP_2)
	v_sub_co_u32 v9, vcc_lo, v7, v9
	v_add3_u32 v10, v10, v12, v11
	s_delay_alu instid0(VALU_DEP_1) | instskip(SKIP_1) | instid1(VALU_DEP_1)
	v_sub_nc_u32_e32 v11, v8, v10
	s_wait_alu 0xfffd
	v_subrev_co_ci_u32_e64 v11, s2, s25, v11, vcc_lo
	v_add_co_u32 v12, s2, v4, 2
	s_wait_alu 0xf1ff
	v_add_co_ci_u32_e64 v13, s2, 0, v6, s2
	v_sub_co_u32 v14, s2, v9, s24
	v_sub_co_ci_u32_e32 v10, vcc_lo, v8, v10, vcc_lo
	s_wait_alu 0xf1ff
	v_subrev_co_ci_u32_e64 v11, s2, 0, v11, s2
	s_delay_alu instid0(VALU_DEP_3) | instskip(NEXT) | instid1(VALU_DEP_3)
	v_cmp_le_u32_e32 vcc_lo, s24, v14
	v_cmp_eq_u32_e64 s2, s25, v10
	s_wait_alu 0xfffd
	v_cndmask_b32_e64 v14, 0, -1, vcc_lo
	v_cmp_le_u32_e32 vcc_lo, s25, v11
	s_wait_alu 0xfffd
	v_cndmask_b32_e64 v15, 0, -1, vcc_lo
	v_cmp_le_u32_e32 vcc_lo, s24, v9
	;; [unrolled: 3-line block ×3, first 2 shown]
	s_wait_alu 0xfffd
	v_cndmask_b32_e64 v16, 0, -1, vcc_lo
	v_cmp_eq_u32_e32 vcc_lo, s25, v11
	s_wait_alu 0xf1ff
	s_delay_alu instid0(VALU_DEP_2)
	v_cndmask_b32_e64 v9, v16, v9, s2
	s_wait_alu 0xfffd
	v_cndmask_b32_e32 v11, v15, v14, vcc_lo
	v_add_co_u32 v14, vcc_lo, v4, 1
	s_wait_alu 0xfffd
	v_add_co_ci_u32_e32 v15, vcc_lo, 0, v6, vcc_lo
	s_delay_alu instid0(VALU_DEP_3) | instskip(SKIP_1) | instid1(VALU_DEP_2)
	v_cmp_ne_u32_e32 vcc_lo, 0, v11
	s_wait_alu 0xfffd
	v_dual_cndmask_b32 v10, v15, v13 :: v_dual_cndmask_b32 v11, v14, v12
	v_cmp_ne_u32_e32 vcc_lo, 0, v9
	s_wait_alu 0xfffd
	s_delay_alu instid0(VALU_DEP_2)
	v_dual_cndmask_b32 v65, v6, v10 :: v_dual_cndmask_b32 v64, v4, v11
.LBB0_4:                                ;   in Loop: Header=BB0_2 Depth=1
	s_wait_alu 0xfffe
	s_and_not1_saveexec_b32 s2, s26
	s_cbranch_execz .LBB0_6
; %bb.5:                                ;   in Loop: Header=BB0_2 Depth=1
	v_cvt_f32_u32_e32 v4, s24
	s_sub_co_i32 s26, 0, s24
	v_mov_b32_e32 v65, v5
	s_delay_alu instid0(VALU_DEP_2) | instskip(NEXT) | instid1(TRANS32_DEP_1)
	v_rcp_iflag_f32_e32 v4, v4
	v_mul_f32_e32 v4, 0x4f7ffffe, v4
	s_delay_alu instid0(VALU_DEP_1) | instskip(SKIP_1) | instid1(VALU_DEP_1)
	v_cvt_u32_f32_e32 v4, v4
	s_wait_alu 0xfffe
	v_mul_lo_u32 v6, s26, v4
	s_delay_alu instid0(VALU_DEP_1) | instskip(NEXT) | instid1(VALU_DEP_1)
	v_mul_hi_u32 v6, v4, v6
	v_add_nc_u32_e32 v4, v4, v6
	s_delay_alu instid0(VALU_DEP_1) | instskip(NEXT) | instid1(VALU_DEP_1)
	v_mul_hi_u32 v4, v7, v4
	v_mul_lo_u32 v6, v4, s24
	s_delay_alu instid0(VALU_DEP_1) | instskip(NEXT) | instid1(VALU_DEP_1)
	v_sub_nc_u32_e32 v6, v7, v6
	v_subrev_nc_u32_e32 v10, s24, v6
	v_cmp_le_u32_e32 vcc_lo, s24, v6
	s_wait_alu 0xfffd
	s_delay_alu instid0(VALU_DEP_2) | instskip(NEXT) | instid1(VALU_DEP_1)
	v_dual_cndmask_b32 v6, v6, v10 :: v_dual_add_nc_u32 v9, 1, v4
	v_cndmask_b32_e32 v4, v4, v9, vcc_lo
	s_delay_alu instid0(VALU_DEP_2) | instskip(NEXT) | instid1(VALU_DEP_2)
	v_cmp_le_u32_e32 vcc_lo, s24, v6
	v_add_nc_u32_e32 v9, 1, v4
	s_wait_alu 0xfffd
	s_delay_alu instid0(VALU_DEP_1)
	v_cndmask_b32_e32 v64, v4, v9, vcc_lo
.LBB0_6:                                ;   in Loop: Header=BB0_2 Depth=1
	s_wait_alu 0xfffe
	s_or_b32 exec_lo, exec_lo, s2
	v_mul_lo_u32 v4, v65, s24
	s_delay_alu instid0(VALU_DEP_2)
	v_mul_lo_u32 v6, v64, s25
	s_load_b64 s[26:27], s[18:19], 0x0
	v_mad_co_u64_u32 v[9:10], null, v64, s24, 0
	s_load_b64 s[24:25], s[16:17], 0x0
	s_add_nc_u64 s[20:21], s[20:21], 1
	s_add_nc_u64 s[16:17], s[16:17], 8
	s_wait_alu 0xfffe
	v_cmp_ge_u64_e64 s2, s[20:21], s[10:11]
	s_add_nc_u64 s[18:19], s[18:19], 8
	s_add_nc_u64 s[22:23], s[22:23], 8
	v_add3_u32 v4, v10, v6, v4
	v_sub_co_u32 v6, vcc_lo, v7, v9
	s_wait_alu 0xfffd
	s_delay_alu instid0(VALU_DEP_2) | instskip(SKIP_2) | instid1(VALU_DEP_1)
	v_sub_co_ci_u32_e32 v4, vcc_lo, v8, v4, vcc_lo
	s_and_b32 vcc_lo, exec_lo, s2
	s_wait_kmcnt 0x0
	v_mul_lo_u32 v7, s26, v4
	v_mul_lo_u32 v8, s27, v6
	v_mad_co_u64_u32 v[1:2], null, s26, v6, v[1:2]
	v_mul_lo_u32 v4, s24, v4
	v_mul_lo_u32 v9, s25, v6
	v_mad_co_u64_u32 v[60:61], null, s24, v6, v[60:61]
	s_delay_alu instid0(VALU_DEP_4) | instskip(NEXT) | instid1(VALU_DEP_2)
	v_add3_u32 v2, v8, v2, v7
	v_add3_u32 v61, v9, v61, v4
	s_wait_alu 0xfffe
	s_cbranch_vccnz .LBB0_8
; %bb.7:                                ;   in Loop: Header=BB0_2 Depth=1
	v_dual_mov_b32 v7, v64 :: v_dual_mov_b32 v8, v65
	s_branch .LBB0_2
.LBB0_8:
	s_load_b64 s[0:1], s[0:1], 0x28
	v_mul_hi_u32 v4, 0x38e38e39, v3
	s_lshl_b64 s[10:11], s[10:11], 3
                                        ; implicit-def: $vgpr62
	s_wait_alu 0xfffe
	s_add_nc_u64 s[2:3], s[14:15], s[10:11]
	s_delay_alu instid0(VALU_DEP_1) | instskip(NEXT) | instid1(VALU_DEP_1)
	v_lshrrev_b32_e32 v4, 1, v4
	v_lshl_add_u32 v5, v4, 3, v4
	v_mul_hi_u32 v4, 0x13b13b14, v0
	s_delay_alu instid0(VALU_DEP_2) | instskip(SKIP_3) | instid1(VALU_DEP_1)
	v_sub_nc_u32_e32 v3, v3, v5
	s_wait_kmcnt 0x0
	v_cmp_gt_u64_e32 vcc_lo, s[0:1], v[64:65]
	v_cmp_le_u64_e64 s0, s[0:1], v[64:65]
	s_and_saveexec_b32 s1, s0
	s_wait_alu 0xfffe
	s_xor_b32 s0, exec_lo, s1
; %bb.9:
	v_mul_u32_u24_e32 v1, 13, v4
                                        ; implicit-def: $vgpr4
	s_delay_alu instid0(VALU_DEP_1)
	v_sub_nc_u32_e32 v62, v0, v1
                                        ; implicit-def: $vgpr0
                                        ; implicit-def: $vgpr1_vgpr2
; %bb.10:
	s_wait_alu 0xfffe
	s_or_saveexec_b32 s1, s0
	s_load_b64 s[2:3], s[2:3], 0x0
	v_mul_u32_u24_e32 v3, 0x9d, v3
	s_delay_alu instid0(VALU_DEP_1)
	v_lshlrev_b32_e32 v48, 4, v3
	s_xor_b32 exec_lo, exec_lo, s1
	s_cbranch_execz .LBB0_14
; %bb.11:
	s_add_nc_u64 s[10:11], s[12:13], s[10:11]
	v_lshlrev_b64_e32 v[1:2], 4, v[1:2]
	s_load_b64 s[10:11], s[10:11], 0x0
	s_wait_kmcnt 0x0
	v_mul_lo_u32 v7, s11, v64
	v_mul_lo_u32 v8, s10, v65
	v_mad_co_u64_u32 v[5:6], null, s10, v64, 0
	s_delay_alu instid0(VALU_DEP_1) | instskip(SKIP_1) | instid1(VALU_DEP_2)
	v_add3_u32 v6, v6, v8, v7
	v_mul_u32_u24_e32 v7, 13, v4
	v_lshlrev_b64_e32 v[4:5], 4, v[5:6]
	s_delay_alu instid0(VALU_DEP_2) | instskip(NEXT) | instid1(VALU_DEP_1)
	v_sub_nc_u32_e32 v62, v0, v7
	v_lshlrev_b32_e32 v53, 4, v62
	s_delay_alu instid0(VALU_DEP_3) | instskip(SKIP_1) | instid1(VALU_DEP_4)
	v_add_co_u32 v0, s0, s4, v4
	s_wait_alu 0xf1ff
	v_add_co_ci_u32_e64 v4, s0, s5, v5, s0
	s_mov_b32 s4, exec_lo
	s_delay_alu instid0(VALU_DEP_2) | instskip(SKIP_1) | instid1(VALU_DEP_2)
	v_add_co_u32 v0, s0, v0, v1
	s_wait_alu 0xf1ff
	v_add_co_ci_u32_e64 v1, s0, v4, v2, s0
	v_add3_u32 v2, 0, v48, v53
	s_delay_alu instid0(VALU_DEP_3) | instskip(SKIP_1) | instid1(VALU_DEP_3)
	v_add_co_u32 v49, s0, v0, v53
	s_wait_alu 0xf1ff
	v_add_co_ci_u32_e64 v50, s0, 0, v1, s0
	s_clause 0xb
	global_load_b128 v[4:7], v[49:50], off
	global_load_b128 v[8:11], v[49:50], off offset:208
	global_load_b128 v[12:15], v[49:50], off offset:416
	;; [unrolled: 1-line block ×11, first 2 shown]
	s_wait_loadcnt 0xb
	ds_store_b128 v2, v[4:7]
	s_wait_loadcnt 0xa
	ds_store_b128 v2, v[8:11] offset:208
	s_wait_loadcnt 0x9
	ds_store_b128 v2, v[12:15] offset:416
	;; [unrolled: 2-line block ×11, first 2 shown]
	v_cmpx_eq_u32_e32 12, v62
	s_cbranch_execz .LBB0_13
; %bb.12:
	global_load_b128 v[4:7], v[0:1], off offset:2496
	v_mov_b32_e32 v62, 12
	s_wait_loadcnt 0x0
	ds_store_b128 v2, v[4:7] offset:2304
.LBB0_13:
	s_wait_alu 0xfffe
	s_or_b32 exec_lo, exec_lo, s4
.LBB0_14:
	s_delay_alu instid0(SALU_CYCLE_1)
	s_or_b32 exec_lo, exec_lo, s1
	v_lshl_add_u32 v82, v3, 4, 0
	v_lshlrev_b32_e32 v10, 4, v62
	global_wb scope:SCOPE_SE
	s_wait_dscnt 0x0
	s_wait_kmcnt 0x0
	s_barrier_signal -1
	s_barrier_wait -1
	global_inv scope:SCOPE_SE
	v_add_nc_u32_e32 v83, v82, v10
	v_sub_nc_u32_e32 v11, v82, v10
	s_mov_b32 s1, exec_lo
                                        ; implicit-def: $vgpr4_vgpr5
	ds_load_b64 v[6:7], v83
	ds_load_b64 v[8:9], v11 offset:2496
	s_wait_dscnt 0x0
	v_add_f64_e32 v[0:1], v[6:7], v[8:9]
	v_add_f64_e64 v[2:3], v[6:7], -v[8:9]
	v_cmpx_ne_u32_e32 0, v62
	s_wait_alu 0xfffe
	s_xor_b32 s1, exec_lo, s1
	s_cbranch_execz .LBB0_16
; %bb.15:
	v_mov_b32_e32 v63, 0
	v_add_f64_e32 v[14:15], v[6:7], v[8:9]
	v_add_f64_e64 v[16:17], v[6:7], -v[8:9]
	s_delay_alu instid0(VALU_DEP_3) | instskip(NEXT) | instid1(VALU_DEP_1)
	v_lshlrev_b64_e32 v[0:1], 4, v[62:63]
	v_add_co_u32 v0, s0, s8, v0
	s_wait_alu 0xf1ff
	s_delay_alu instid0(VALU_DEP_2)
	v_add_co_ci_u32_e64 v1, s0, s9, v1, s0
	global_load_b128 v[2:5], v[0:1], off offset:2448
	ds_load_b64 v[0:1], v11 offset:2504
	ds_load_b64 v[12:13], v83 offset:8
	s_wait_dscnt 0x0
	v_add_f64_e32 v[6:7], v[0:1], v[12:13]
	v_add_f64_e64 v[0:1], v[12:13], -v[0:1]
	s_wait_loadcnt 0x0
	v_fma_f64 v[8:9], v[16:17], v[4:5], v[14:15]
	v_fma_f64 v[12:13], -v[16:17], v[4:5], v[14:15]
	s_delay_alu instid0(VALU_DEP_3) | instskip(SKIP_1) | instid1(VALU_DEP_4)
	v_fma_f64 v[14:15], v[6:7], v[4:5], -v[0:1]
	v_fma_f64 v[4:5], v[6:7], v[4:5], v[0:1]
	v_fma_f64 v[0:1], -v[6:7], v[2:3], v[8:9]
	s_delay_alu instid0(VALU_DEP_4) | instskip(NEXT) | instid1(VALU_DEP_4)
	v_fma_f64 v[6:7], v[6:7], v[2:3], v[12:13]
	v_fma_f64 v[8:9], v[16:17], v[2:3], v[14:15]
	s_delay_alu instid0(VALU_DEP_4)
	v_fma_f64 v[2:3], v[16:17], v[2:3], v[4:5]
	v_dual_mov_b32 v4, v62 :: v_dual_mov_b32 v5, v63
	ds_store_b128 v11, v[6:9] offset:2496
.LBB0_16:
	s_wait_alu 0xfffe
	s_and_not1_saveexec_b32 s0, s1
	s_cbranch_execz .LBB0_18
; %bb.17:
	ds_load_b128 v[4:7], v82 offset:1248
	s_wait_dscnt 0x0
	v_add_f64_e32 v[12:13], v[4:5], v[4:5]
	v_mul_f64_e32 v[14:15], -2.0, v[6:7]
	v_mov_b32_e32 v4, 0
	v_mov_b32_e32 v5, 0
	ds_store_b128 v82, v[12:15] offset:1248
.LBB0_18:
	s_wait_alu 0xfffe
	s_or_b32 exec_lo, exec_lo, s0
	v_lshlrev_b64_e32 v[4:5], 4, v[4:5]
	s_add_nc_u64 s[0:1], s[8:9], 0x990
	v_add3_u32 v63, 0, v10, v48
	v_and_b32_e32 v59, 0xff, v62
	s_mov_b32 s5, 0xbfebb67a
	s_wait_alu 0xfffe
	v_add_co_u32 v24, s0, s0, v4
	s_wait_alu 0xf1ff
	v_add_co_ci_u32_e64 v25, s0, s1, v5, s0
	s_mov_b32 s0, 0xe8584caa
	s_mov_b32 s1, 0x3febb67a
	s_wait_alu 0xfffe
	s_mov_b32 s4, s0
	s_clause 0x1
	global_load_b128 v[4:7], v[24:25], off offset:208
	global_load_b128 v[12:15], v[24:25], off offset:416
	ds_store_b128 v83, v[0:3]
	ds_load_b128 v[0:3], v83 offset:208
	ds_load_b128 v[16:19], v11 offset:2288
	global_load_b128 v[20:23], v[24:25], off offset:624
	s_wait_dscnt 0x0
	v_add_f64_e32 v[8:9], v[0:1], v[16:17]
	v_add_f64_e32 v[26:27], v[18:19], v[2:3]
	v_add_f64_e64 v[16:17], v[0:1], -v[16:17]
	v_add_f64_e64 v[0:1], v[2:3], -v[18:19]
	s_wait_loadcnt 0x2
	s_delay_alu instid0(VALU_DEP_2) | instskip(NEXT) | instid1(VALU_DEP_2)
	v_fma_f64 v[2:3], v[16:17], v[6:7], v[8:9]
	v_fma_f64 v[18:19], v[26:27], v[6:7], v[0:1]
	v_fma_f64 v[8:9], -v[16:17], v[6:7], v[8:9]
	v_fma_f64 v[28:29], v[26:27], v[6:7], -v[0:1]
	s_delay_alu instid0(VALU_DEP_4) | instskip(NEXT) | instid1(VALU_DEP_4)
	v_fma_f64 v[0:1], -v[26:27], v[4:5], v[2:3]
	v_fma_f64 v[2:3], v[16:17], v[4:5], v[18:19]
	s_delay_alu instid0(VALU_DEP_4) | instskip(NEXT) | instid1(VALU_DEP_4)
	v_fma_f64 v[6:7], v[26:27], v[4:5], v[8:9]
	v_fma_f64 v[8:9], v[16:17], v[4:5], v[28:29]
	ds_store_b128 v83, v[0:3] offset:208
	ds_store_b128 v11, v[6:9] offset:2288
	ds_load_b128 v[0:3], v83 offset:416
	ds_load_b128 v[4:7], v11 offset:2080
	global_load_b128 v[16:19], v[24:25], off offset:832
	s_wait_dscnt 0x0
	v_add_f64_e32 v[8:9], v[0:1], v[4:5]
	v_add_f64_e32 v[26:27], v[6:7], v[2:3]
	v_add_f64_e64 v[28:29], v[0:1], -v[4:5]
	v_add_f64_e64 v[0:1], v[2:3], -v[6:7]
	s_wait_loadcnt 0x2
	s_delay_alu instid0(VALU_DEP_2) | instskip(NEXT) | instid1(VALU_DEP_2)
	v_fma_f64 v[2:3], v[28:29], v[14:15], v[8:9]
	v_fma_f64 v[4:5], v[26:27], v[14:15], v[0:1]
	v_fma_f64 v[6:7], -v[28:29], v[14:15], v[8:9]
	v_fma_f64 v[8:9], v[26:27], v[14:15], -v[0:1]
	s_delay_alu instid0(VALU_DEP_4) | instskip(NEXT) | instid1(VALU_DEP_4)
	v_fma_f64 v[0:1], -v[26:27], v[12:13], v[2:3]
	v_fma_f64 v[2:3], v[28:29], v[12:13], v[4:5]
	s_delay_alu instid0(VALU_DEP_4) | instskip(NEXT) | instid1(VALU_DEP_4)
	v_fma_f64 v[4:5], v[26:27], v[12:13], v[6:7]
	v_fma_f64 v[6:7], v[28:29], v[12:13], v[8:9]
	ds_store_b128 v83, v[0:3] offset:416
	ds_store_b128 v11, v[4:7] offset:2080
	;; [unrolled: 22-line block ×3, first 2 shown]
	ds_load_b128 v[0:3], v83 offset:832
	ds_load_b128 v[4:7], v11 offset:1664
	s_wait_dscnt 0x0
	v_add_f64_e32 v[8:9], v[0:1], v[4:5]
	v_add_f64_e32 v[20:21], v[6:7], v[2:3]
	v_add_f64_e64 v[22:23], v[0:1], -v[4:5]
	v_add_f64_e64 v[0:1], v[2:3], -v[6:7]
	s_wait_loadcnt 0x1
	s_delay_alu instid0(VALU_DEP_2) | instskip(NEXT) | instid1(VALU_DEP_2)
	v_fma_f64 v[2:3], v[22:23], v[18:19], v[8:9]
	v_fma_f64 v[4:5], v[20:21], v[18:19], v[0:1]
	v_fma_f64 v[6:7], -v[22:23], v[18:19], v[8:9]
	v_fma_f64 v[8:9], v[20:21], v[18:19], -v[0:1]
	s_delay_alu instid0(VALU_DEP_4) | instskip(NEXT) | instid1(VALU_DEP_4)
	v_fma_f64 v[0:1], -v[20:21], v[16:17], v[2:3]
	v_fma_f64 v[2:3], v[22:23], v[16:17], v[4:5]
	s_delay_alu instid0(VALU_DEP_4) | instskip(NEXT) | instid1(VALU_DEP_4)
	v_fma_f64 v[4:5], v[20:21], v[16:17], v[6:7]
	v_fma_f64 v[6:7], v[22:23], v[16:17], v[8:9]
	ds_store_b128 v83, v[0:3] offset:832
	ds_store_b128 v11, v[4:7] offset:1664
	ds_load_b128 v[0:3], v83 offset:1040
	ds_load_b128 v[4:7], v11 offset:1456
	s_wait_dscnt 0x0
	v_add_f64_e32 v[8:9], v[0:1], v[4:5]
	v_add_f64_e32 v[16:17], v[6:7], v[2:3]
	v_add_f64_e64 v[18:19], v[0:1], -v[4:5]
	v_add_f64_e64 v[0:1], v[2:3], -v[6:7]
	s_wait_loadcnt 0x0
	s_delay_alu instid0(VALU_DEP_2) | instskip(NEXT) | instid1(VALU_DEP_2)
	v_fma_f64 v[2:3], v[18:19], v[14:15], v[8:9]
	v_fma_f64 v[4:5], v[16:17], v[14:15], v[0:1]
	v_fma_f64 v[6:7], -v[18:19], v[14:15], v[8:9]
	v_fma_f64 v[8:9], v[16:17], v[14:15], -v[0:1]
	s_delay_alu instid0(VALU_DEP_4) | instskip(NEXT) | instid1(VALU_DEP_4)
	v_fma_f64 v[0:1], -v[16:17], v[12:13], v[2:3]
	v_fma_f64 v[2:3], v[18:19], v[12:13], v[4:5]
	s_delay_alu instid0(VALU_DEP_4) | instskip(NEXT) | instid1(VALU_DEP_4)
	v_fma_f64 v[4:5], v[16:17], v[12:13], v[6:7]
	v_fma_f64 v[6:7], v[18:19], v[12:13], v[8:9]
	ds_store_b128 v83, v[0:3] offset:1040
	ds_store_b128 v11, v[4:7] offset:1456
	global_wb scope:SCOPE_SE
	s_wait_dscnt 0x0
	s_barrier_signal -1
	s_barrier_wait -1
	global_inv scope:SCOPE_SE
	global_wb scope:SCOPE_SE
	s_barrier_signal -1
	s_barrier_wait -1
	global_inv scope:SCOPE_SE
	ds_load_b128 v[0:3], v63 offset:1664
	ds_load_b128 v[12:15], v63 offset:832
	;; [unrolled: 1-line block ×8, first 2 shown]
	ds_load_b128 v[32:35], v83
	ds_load_b128 v[36:39], v63 offset:208
	ds_load_b128 v[40:43], v63 offset:416
	;; [unrolled: 1-line block ×3, first 2 shown]
	global_wb scope:SCOPE_SE
	s_wait_dscnt 0x0
	s_barrier_signal -1
	s_barrier_wait -1
	global_inv scope:SCOPE_SE
	v_add_f64_e32 v[49:50], v[12:13], v[0:1]
	v_add_f64_e32 v[51:52], v[14:15], v[2:3]
	;; [unrolled: 1-line block ×11, first 2 shown]
	v_add_f64_e64 v[74:75], v[14:15], -v[2:3]
	v_add_f64_e32 v[14:15], v[34:35], v[14:15]
	v_add_f64_e32 v[76:77], v[36:37], v[16:17]
	v_add_f64_e32 v[78:79], v[38:39], v[18:19]
	v_add_f64_e32 v[86:87], v[44:45], v[24:25]
	v_add_f64_e32 v[88:89], v[46:47], v[26:27]
	v_fma_f64 v[32:33], v[49:50], -0.5, v[32:33]
	v_add_f64_e64 v[49:50], v[12:13], -v[0:1]
	v_fma_f64 v[34:35], v[51:52], -0.5, v[34:35]
	v_add_f64_e64 v[51:52], v[18:19], -v[6:7]
	;; [unrolled: 2-line block ×7, first 2 shown]
	v_fma_f64 v[46:47], v[70:71], -0.5, v[46:47]
	v_add_nc_u16 v70, v62, 13
	v_add_nc_u16 v71, v62, 26
	v_mul_lo_u16 v12, 0xab, v59
	v_add_f64_e32 v[8:9], v[80:81], v[8:9]
	v_add_f64_e32 v[10:11], v[84:85], v[10:11]
	v_and_b32_e32 v13, 0xff, v70
	v_and_b32_e32 v16, 0xff, v71
	v_add_f64_e32 v[0:1], v[72:73], v[0:1]
	v_add_f64_e32 v[2:3], v[14:15], v[2:3]
	v_lshrrev_b16 v59, 9, v12
	v_mul_lo_u16 v90, 0xab, v13
	v_mul_lo_u16 v91, 0xab, v16
	v_add_f64_e32 v[4:5], v[76:77], v[4:5]
	v_add_f64_e32 v[6:7], v[78:79], v[6:7]
	;; [unrolled: 1-line block ×4, first 2 shown]
	v_mul_lo_u16 v92, v59, 3
	v_lshrrev_b16 v104, 9, v90
	v_lshrrev_b16 v105, 9, v91
	s_delay_alu instid0(VALU_DEP_3)
	v_sub_nc_u16 v106, v62, v92
	v_fma_f64 v[12:13], v[74:75], s[0:1], v[32:33]
	s_wait_alu 0xfffe
	v_fma_f64 v[16:17], v[74:75], s[4:5], v[32:33]
	v_fma_f64 v[14:15], v[49:50], s[4:5], v[34:35]
	;; [unrolled: 1-line block ×15, first 2 shown]
	v_mul_lo_u16 v49, v104, 3
	v_mul_lo_u16 v50, v105, 3
	;; [unrolled: 1-line block ×3, first 2 shown]
	v_cmp_gt_u32_e64 s0, 12, v62
	s_delay_alu instid0(VALU_DEP_4) | instskip(NEXT) | instid1(VALU_DEP_4)
	v_sub_nc_u16 v107, v70, v49
	v_sub_nc_u16 v49, v71, v50
	s_delay_alu instid0(VALU_DEP_4) | instskip(NEXT) | instid1(VALU_DEP_3)
	v_and_b32_e32 v50, 0xff, v51
	v_mul_lo_u16 v51, v107, 3
	s_delay_alu instid0(VALU_DEP_3) | instskip(SKIP_1) | instid1(VALU_DEP_4)
	v_and_b32_e32 v108, 0xff, v49
	v_lshl_add_u32 v49, v62, 5, v63
	v_lshlrev_b32_e32 v50, 4, v50
	ds_store_b128 v49, v[8:11] offset:1248
	ds_store_b128 v49, v[0:3]
	ds_store_b128 v49, v[12:15] offset:16
	ds_store_b128 v49, v[16:19] offset:32
	;; [unrolled: 1-line block ×5, first 2 shown]
	ds_store_2addr_b64 v49, v[32:33], v[36:37] offset0:158 offset1:159
	ds_store_2addr_b64 v49, v[34:35], v[38:39] offset0:160 offset1:161
	;; [unrolled: 1-line block ×5, first 2 shown]
	v_and_b32_e32 v51, 0xff, v51
	v_mul_u32_u24_e32 v52, 3, v108
	global_wb scope:SCOPE_SE
	s_wait_dscnt 0x0
	s_barrier_signal -1
	s_barrier_wait -1
	v_lshlrev_b32_e32 v20, 4, v51
	v_lshlrev_b32_e32 v32, 4, v52
	global_inv scope:SCOPE_SE
	s_clause 0x8
	global_load_b128 v[0:3], v50, s[8:9]
	global_load_b128 v[4:7], v50, s[8:9] offset:16
	global_load_b128 v[8:11], v50, s[8:9] offset:32
	global_load_b128 v[12:15], v20, s[8:9]
	global_load_b128 v[16:19], v20, s[8:9] offset:16
	global_load_b128 v[20:23], v20, s[8:9] offset:32
	;; [unrolled: 3-line block ×3, first 2 shown]
	ds_load_b128 v[36:39], v63 offset:624
	ds_load_b128 v[40:43], v63 offset:1248
	;; [unrolled: 1-line block ×10, first 2 shown]
	s_wait_loadcnt_dscnt 0x405
	v_mul_f64_e32 v[94:95], v[55:56], v[18:19]
	v_mul_f64_e32 v[88:89], v[42:43], v[6:7]
	v_mul_f64_e32 v[57:58], v[38:39], v[2:3]
	v_mul_f64_e32 v[2:3], v[36:37], v[2:3]
	v_mul_f64_e32 v[6:7], v[40:41], v[6:7]
	v_mul_f64_e32 v[90:91], v[46:47], v[10:11]
	v_mul_f64_e32 v[10:11], v[44:45], v[10:11]
	v_mul_f64_e32 v[92:93], v[51:52], v[14:15]
	v_mul_f64_e32 v[14:15], v[49:50], v[14:15]
	v_mul_f64_e32 v[18:19], v[53:54], v[18:19]
	s_wait_loadcnt_dscnt 0x304
	v_mul_f64_e32 v[96:97], v[68:69], v[22:23]
	v_mul_f64_e32 v[22:23], v[66:67], v[22:23]
	s_wait_loadcnt_dscnt 0x203
	v_mul_f64_e32 v[98:99], v[72:73], v[26:27]
	v_mul_f64_e32 v[26:27], v[70:71], v[26:27]
	;; [unrolled: 3-line block ×4, first 2 shown]
	v_fma_f64 v[40:41], v[40:41], v[4:5], -v[88:89]
	v_fma_f64 v[36:37], v[36:37], v[0:1], -v[57:58]
	v_fma_f64 v[38:39], v[38:39], v[0:1], v[2:3]
	v_fma_f64 v[42:43], v[42:43], v[4:5], v[6:7]
	v_fma_f64 v[44:45], v[44:45], v[8:9], -v[90:91]
	v_fma_f64 v[8:9], v[46:47], v[8:9], v[10:11]
	v_fma_f64 v[10:11], v[49:50], v[12:13], -v[92:93]
	;; [unrolled: 2-line block ×7, first 2 shown]
	v_fma_f64 v[32:33], v[80:81], v[32:33], v[34:35]
	ds_load_b128 v[0:3], v83
	ds_load_b128 v[4:7], v63 offset:208
	global_wb scope:SCOPE_SE
	s_wait_dscnt 0x0
	s_barrier_signal -1
	s_barrier_wait -1
	global_inv scope:SCOPE_SE
	v_add_f64_e64 v[34:35], v[0:1], -v[40:41]
	v_add_f64_e64 v[40:41], v[2:3], -v[42:43]
	;; [unrolled: 1-line block ×12, first 2 shown]
	v_fma_f64 v[0:1], v[0:1], 2.0, -v[34:35]
	v_fma_f64 v[2:3], v[2:3], 2.0, -v[40:41]
	v_fma_f64 v[28:29], v[36:37], 2.0, -v[42:43]
	v_fma_f64 v[30:31], v[38:39], 2.0, -v[8:9]
	v_add_f64_e64 v[20:21], v[34:35], -v[8:9]
	v_fma_f64 v[32:33], v[4:5], 2.0, -v[49:50]
	v_fma_f64 v[36:37], v[6:7], 2.0, -v[51:52]
	;; [unrolled: 1-line block ×4, first 2 shown]
	v_add_f64_e64 v[12:13], v[49:50], -v[16:17]
	v_add_f64_e32 v[14:15], v[51:52], v[14:15]
	v_fma_f64 v[57:58], v[84:85], 2.0, -v[53:54]
	v_fma_f64 v[66:67], v[86:87], 2.0, -v[55:56]
	v_fma_f64 v[44:45], v[22:23], 2.0, -v[18:19]
	v_fma_f64 v[24:25], v[24:25], 2.0, -v[26:27]
	v_add_f64_e32 v[22:23], v[40:41], v[42:43]
	v_add_f64_e64 v[16:17], v[53:54], -v[26:27]
	v_add_f64_e32 v[18:19], v[55:56], v[18:19]
	v_add_f64_e64 v[4:5], v[0:1], -v[28:29]
	v_add_f64_e64 v[6:7], v[2:3], -v[30:31]
	;; [unrolled: 1-line block ×4, first 2 shown]
	v_fma_f64 v[28:29], v[49:50], 2.0, -v[12:13]
	v_fma_f64 v[30:31], v[51:52], 2.0, -v[14:15]
	v_mul_lo_u16 v49, v59, 12
	v_mul_lo_u16 v50, v104, 12
	v_add_f64_e64 v[44:45], v[57:58], -v[44:45]
	v_add_f64_e64 v[46:47], v[66:67], -v[24:25]
	v_fma_f64 v[24:25], v[34:35], 2.0, -v[20:21]
	v_fma_f64 v[26:27], v[40:41], 2.0, -v[22:23]
	v_fma_f64 v[40:41], v[53:54], 2.0, -v[16:17]
	v_fma_f64 v[42:43], v[55:56], 2.0, -v[18:19]
	v_and_b32_e32 v51, 0xffff, v105
	v_or_b32_e32 v49, v49, v106
	v_or_b32_e32 v50, v50, v107
	s_delay_alu instid0(VALU_DEP_3) | instskip(NEXT) | instid1(VALU_DEP_3)
	v_mul_u32_u24_e32 v51, 12, v51
	v_and_b32_e32 v49, 0xff, v49
	s_delay_alu instid0(VALU_DEP_3) | instskip(NEXT) | instid1(VALU_DEP_3)
	v_and_b32_e32 v50, 0xff, v50
	v_or_b32_e32 v51, v51, v108
	s_delay_alu instid0(VALU_DEP_3) | instskip(NEXT) | instid1(VALU_DEP_3)
	v_lshlrev_b32_e32 v49, 4, v49
	v_lshlrev_b32_e32 v50, 4, v50
	s_delay_alu instid0(VALU_DEP_3) | instskip(NEXT) | instid1(VALU_DEP_3)
	v_lshlrev_b32_e32 v51, 4, v51
	v_add3_u32 v49, 0, v49, v48
	s_delay_alu instid0(VALU_DEP_3)
	v_add3_u32 v50, 0, v50, v48
	v_fma_f64 v[0:1], v[0:1], 2.0, -v[4:5]
	v_fma_f64 v[2:3], v[2:3], 2.0, -v[6:7]
	v_add3_u32 v48, 0, v51, v48
	v_fma_f64 v[32:33], v[32:33], 2.0, -v[8:9]
	v_fma_f64 v[34:35], v[36:37], 2.0, -v[10:11]
	v_fma_f64 v[36:37], v[57:58], 2.0, -v[44:45]
	v_fma_f64 v[38:39], v[66:67], 2.0, -v[46:47]
	ds_store_b128 v49, v[4:7] offset:96
	ds_store_b128 v49, v[20:23] offset:144
	ds_store_b128 v49, v[0:3]
	ds_store_b128 v49, v[24:27] offset:48
	ds_store_b128 v50, v[32:35]
	ds_store_b128 v50, v[28:31] offset:48
	ds_store_b128 v50, v[8:11] offset:96
	;; [unrolled: 1-line block ×3, first 2 shown]
	ds_store_b128 v48, v[36:39]
	ds_store_b128 v48, v[40:43] offset:48
	ds_store_b128 v48, v[44:47] offset:96
	;; [unrolled: 1-line block ×3, first 2 shown]
	global_wb scope:SCOPE_SE
	s_wait_dscnt 0x0
	s_barrier_signal -1
	s_barrier_wait -1
	global_inv scope:SCOPE_SE
                                        ; implicit-def: $vgpr50_vgpr51
	s_and_saveexec_b32 s1, s0
	s_cbranch_execz .LBB0_20
; %bb.19:
	ds_load_b128 v[0:3], v83
	ds_load_b128 v[24:27], v63 offset:192
	ds_load_b128 v[4:7], v63 offset:384
	;; [unrolled: 1-line block ×12, first 2 shown]
.LBB0_20:
	s_wait_alu 0xfffe
	s_or_b32 exec_lo, exec_lo, s1
	global_wb scope:SCOPE_SE
	s_wait_dscnt 0x0
	s_barrier_signal -1
	s_barrier_wait -1
	global_inv scope:SCOPE_SE
	s_and_saveexec_b32 s33, s0
	s_cbranch_execz .LBB0_22
; %bb.21:
	v_dual_mov_b32 v53, 0 :: v_dual_add_nc_u32 v52, -12, v62
	s_mov_b32 s10, 0xebaa3ed8
	s_mov_b32 s18, 0x1ea71119
	;; [unrolled: 1-line block ×3, first 2 shown]
	s_delay_alu instid0(VALU_DEP_1)
	v_cndmask_b32_e64 v52, v52, v62, s0
	s_mov_b32 s36, 0xe00740e9
	s_mov_b32 s11, 0x3fbedb7d
	;; [unrolled: 1-line block ×4, first 2 shown]
	v_mul_i32_i24_e32 v52, 12, v52
	s_mov_b32 s37, 0x3fec55a7
	s_mov_b32 s38, 0x4267c47c
	;; [unrolled: 1-line block ×4, first 2 shown]
	v_lshlrev_b64_e32 v[52:53], 4, v[52:53]
	s_mov_b32 s40, s38
	s_mov_b32 s26, 0x66966769
	;; [unrolled: 1-line block ×5, first 2 shown]
	v_add_co_u32 v68, s0, s8, v52
	s_wait_alu 0xf1ff
	v_add_co_ci_u32_e64 v69, s0, s9, v53, s0
	s_mov_b32 s8, 0xb2365da1
	s_mov_b32 s0, 0x93053d00
	;; [unrolled: 1-line block ×3, first 2 shown]
	s_clause 0x1
	global_load_b128 v[56:59], v[68:69], off offset:144
	global_load_b128 v[52:55], v[68:69], off offset:160
	s_mov_b32 s1, 0xbfef11f4
	s_mov_b32 s16, 0x24c2f84
	s_mov_b32 s14, 0x4bc48dbf
	s_mov_b32 s13, 0x3fedeba7
	s_mov_b32 s35, 0xbfea55e2
	s_mov_b32 s17, 0x3fe5384d
	s_mov_b32 s15, 0x3fcea1e5
	s_mov_b32 s21, 0x3fefc445
	s_mov_b32 s31, 0xbfedeba7
	s_mov_b32 s23, 0x3fea55e2
	s_mov_b32 s29, 0xbfe5384d
	s_mov_b32 s25, 0xbfcea1e5
	s_wait_alu 0xfffe
	s_mov_b32 s20, s26
	s_mov_b32 s30, s12
	;; [unrolled: 1-line block ×5, first 2 shown]
	s_wait_loadcnt 0x1
	v_mul_f64_e32 v[66:67], v[24:25], v[58:59]
	s_delay_alu instid0(VALU_DEP_1) | instskip(SKIP_1) | instid1(VALU_DEP_1)
	v_fma_f64 v[66:67], v[26:27], v[56:57], v[66:67]
	v_mul_f64_e32 v[26:27], v[26:27], v[58:59]
	v_fma_f64 v[84:85], v[24:25], v[56:57], -v[26:27]
	s_clause 0x1
	global_load_b128 v[56:59], v[68:69], off offset:320
	global_load_b128 v[70:73], v[68:69], off offset:304
	s_wait_loadcnt 0x1
	v_mul_f64_e32 v[24:25], v[48:49], v[58:59]
	v_mul_f64_e32 v[26:27], v[50:51], v[58:59]
	s_delay_alu instid0(VALU_DEP_2) | instskip(NEXT) | instid1(VALU_DEP_2)
	v_fma_f64 v[24:25], v[50:51], v[56:57], v[24:25]
	v_fma_f64 v[26:27], v[48:49], v[56:57], -v[26:27]
	global_load_b128 v[56:59], v[68:69], off offset:176
	v_add_f64_e32 v[96:97], v[84:85], v[26:27]
	s_wait_loadcnt 0x0
	v_mul_f64_e32 v[48:49], v[20:21], v[58:59]
	s_delay_alu instid0(VALU_DEP_1) | instskip(SKIP_1) | instid1(VALU_DEP_1)
	v_fma_f64 v[48:49], v[22:23], v[56:57], v[48:49]
	v_mul_f64_e32 v[22:23], v[22:23], v[58:59]
	v_fma_f64 v[50:51], v[20:21], v[56:57], -v[22:23]
	s_clause 0x1
	global_load_b128 v[56:59], v[68:69], off offset:288
	global_load_b128 v[74:77], v[68:69], off offset:272
	s_wait_loadcnt 0x1
	v_mul_f64_e32 v[20:21], v[44:45], v[58:59]
	v_mul_f64_e32 v[22:23], v[46:47], v[58:59]
	s_delay_alu instid0(VALU_DEP_2) | instskip(NEXT) | instid1(VALU_DEP_2)
	v_fma_f64 v[20:21], v[46:47], v[56:57], v[20:21]
	v_fma_f64 v[22:23], v[44:45], v[56:57], -v[22:23]
	global_load_b128 v[56:59], v[68:69], off offset:192
	v_add_f64_e32 v[124:125], v[48:49], v[20:21]
	v_add_f64_e64 v[126:127], v[48:49], -v[20:21]
	v_add_f64_e32 v[128:129], v[50:51], v[22:23]
	s_delay_alu instid0(VALU_DEP_3) | instskip(SKIP_1) | instid1(VALU_DEP_3)
	v_mul_f64_e32 v[170:171], s[0:1], v[124:125]
	s_wait_alu 0xfffe
	v_mul_f64_e32 v[172:173], s[24:25], v[126:127]
	s_wait_loadcnt 0x0
	v_mul_f64_e32 v[44:45], v[32:33], v[58:59]
	s_delay_alu instid0(VALU_DEP_1) | instskip(SKIP_1) | instid1(VALU_DEP_1)
	v_fma_f64 v[44:45], v[34:35], v[56:57], v[44:45]
	v_mul_f64_e32 v[34:35], v[34:35], v[58:59]
	v_fma_f64 v[46:47], v[32:33], v[56:57], -v[34:35]
	v_mul_f64_e32 v[32:33], v[40:41], v[76:77]
	v_mul_f64_e32 v[34:35], v[42:43], v[76:77]
	s_delay_alu instid0(VALU_DEP_2) | instskip(NEXT) | instid1(VALU_DEP_2)
	v_fma_f64 v[32:33], v[42:43], v[74:75], v[32:33]
	v_fma_f64 v[34:35], v[40:41], v[74:75], -v[34:35]
	s_clause 0x1
	global_load_b128 v[56:59], v[68:69], off offset:208
	global_load_b128 v[74:77], v[68:69], off offset:224
	v_add_f64_e32 v[130:131], v[44:45], v[32:33]
	v_add_f64_e64 v[132:133], v[46:47], -v[34:35]
	v_add_f64_e32 v[136:137], v[46:47], v[34:35]
	s_delay_alu instid0(VALU_DEP_3) | instskip(SKIP_2) | instid1(VALU_DEP_1)
	v_mul_f64_e32 v[174:175], s[4:5], v[130:131]
	s_wait_loadcnt 0x1
	v_mul_f64_e32 v[40:41], v[28:29], v[58:59]
	v_fma_f64 v[40:41], v[30:31], v[56:57], v[40:41]
	v_mul_f64_e32 v[30:31], v[30:31], v[58:59]
	s_delay_alu instid0(VALU_DEP_1)
	v_fma_f64 v[30:31], v[28:29], v[56:57], -v[30:31]
	s_clause 0x1
	global_load_b128 v[56:59], v[68:69], off offset:256
	global_load_b128 v[78:81], v[68:69], off offset:240
	v_add_f64_e64 v[68:69], v[84:85], -v[26:27]
	s_wait_loadcnt 0x1
	v_mul_f64_e32 v[28:29], v[36:37], v[58:59]
	s_delay_alu instid0(VALU_DEP_1) | instskip(SKIP_1) | instid1(VALU_DEP_1)
	v_fma_f64 v[28:29], v[38:39], v[56:57], v[28:29]
	v_mul_f64_e32 v[38:39], v[38:39], v[58:59]
	v_fma_f64 v[36:37], v[36:37], v[56:57], -v[38:39]
	v_mul_f64_e32 v[38:39], v[8:9], v[76:77]
	s_delay_alu instid0(VALU_DEP_2) | instskip(NEXT) | instid1(VALU_DEP_2)
	v_add_f64_e64 v[142:143], v[30:31], -v[36:37]
	v_fma_f64 v[38:39], v[10:11], v[74:75], v[38:39]
	v_mul_f64_e32 v[10:11], v[10:11], v[76:77]
	v_add_f64_e32 v[148:149], v[30:31], v[36:37]
	s_delay_alu instid0(VALU_DEP_2) | instskip(SKIP_2) | instid1(VALU_DEP_1)
	v_fma_f64 v[8:9], v[8:9], v[74:75], -v[10:11]
	s_wait_loadcnt 0x0
	v_mul_f64_e32 v[10:11], v[12:13], v[80:81]
	v_fma_f64 v[10:11], v[14:15], v[78:79], v[10:11]
	v_mul_f64_e32 v[14:15], v[14:15], v[80:81]
	s_delay_alu instid0(VALU_DEP_1) | instskip(SKIP_1) | instid1(VALU_DEP_2)
	v_fma_f64 v[12:13], v[12:13], v[78:79], -v[14:15]
	v_mul_f64_e32 v[14:15], v[4:5], v[54:55]
	v_add_f64_e64 v[154:155], v[8:9], -v[12:13]
	s_delay_alu instid0(VALU_DEP_2) | instskip(SKIP_2) | instid1(VALU_DEP_2)
	v_fma_f64 v[14:15], v[6:7], v[52:53], v[14:15]
	v_mul_f64_e32 v[6:7], v[6:7], v[54:55]
	v_add_f64_e32 v[160:161], v[8:9], v[12:13]
	v_fma_f64 v[42:43], v[4:5], v[52:53], -v[6:7]
	v_mul_f64_e32 v[6:7], v[18:19], v[72:73]
	v_mul_f64_e32 v[4:5], v[16:17], v[72:73]
	s_delay_alu instid0(VALU_DEP_2) | instskip(SKIP_1) | instid1(VALU_DEP_3)
	v_fma_f64 v[6:7], v[16:17], v[70:71], -v[6:7]
	v_add_f64_e32 v[16:17], v[66:67], v[24:25]
	v_fma_f64 v[4:5], v[18:19], v[70:71], v[4:5]
	s_delay_alu instid0(VALU_DEP_2)
	v_mul_f64_e32 v[18:19], s[0:1], v[16:17]
	v_mul_f64_e32 v[52:53], s[4:5], v[16:17]
	;; [unrolled: 1-line block ×6, first 2 shown]
	v_fma_f64 v[70:71], v[68:69], s[14:15], v[18:19]
	v_fma_f64 v[72:73], v[68:69], s[24:25], v[18:19]
	;; [unrolled: 1-line block ×7, first 2 shown]
	v_add_f64_e64 v[16:17], v[66:67], -v[24:25]
	v_fma_f64 v[54:55], v[68:69], s[30:31], v[54:55]
	v_fma_f64 v[86:87], v[68:69], s[20:21], v[56:57]
	;; [unrolled: 1-line block ×5, first 2 shown]
	v_add_f64_e32 v[70:71], v[2:3], v[70:71]
	v_add_f64_e32 v[114:115], v[2:3], v[74:75]
	;; [unrolled: 1-line block ×5, first 2 shown]
	v_mul_f64_e32 v[80:81], s[26:27], v[16:17]
	v_mul_f64_e32 v[18:19], s[24:25], v[16:17]
	;; [unrolled: 1-line block ×6, first 2 shown]
	v_add_f64_e32 v[76:77], v[2:3], v[86:87]
	v_add_f64_e32 v[122:123], v[2:3], v[56:57]
	;; [unrolled: 1-line block ×3, first 2 shown]
	v_mul_f64_e32 v[92:93], s[4:5], v[124:125]
	v_fma_f64 v[106:107], v[96:97], s[10:11], v[80:81]
	v_fma_f64 v[98:99], v[96:97], s[0:1], v[18:19]
	v_fma_f64 v[100:101], v[96:97], s[0:1], -v[18:19]
	v_fma_f64 v[102:103], v[96:97], s[4:5], v[68:69]
	v_fma_f64 v[68:69], v[96:97], s[4:5], -v[68:69]
	;; [unrolled: 2-line block ×3, first 2 shown]
	v_fma_f64 v[108:109], v[96:97], s[10:11], -v[80:81]
	v_fma_f64 v[110:111], v[96:97], s[18:19], v[94:95]
	v_fma_f64 v[94:95], v[96:97], s[18:19], -v[94:95]
	v_fma_f64 v[112:113], v[96:97], s[36:37], v[16:17]
	v_fma_f64 v[96:97], v[96:97], s[36:37], -v[16:17]
	v_add_f64_e32 v[16:17], v[2:3], v[66:67]
	v_add_f64_e32 v[18:19], v[0:1], v[84:85]
	;; [unrolled: 1-line block ×19, first 2 shown]
	v_add_f64_e64 v[0:1], v[42:43], -v[6:7]
	v_add_f64_e64 v[112:113], v[14:15], -v[4:5]
	v_mul_f64_e32 v[88:89], s[36:37], v[58:59]
	v_mul_f64_e32 v[166:167], s[8:9], v[58:59]
	;; [unrolled: 1-line block ×3, first 2 shown]
	s_delay_alu instid0(VALU_DEP_4) | instskip(SKIP_3) | instid1(VALU_DEP_2)
	v_mul_f64_e32 v[90:91], s[40:41], v[112:113]
	v_mul_f64_e32 v[168:169], s[30:31], v[112:113]
	v_fma_f64 v[72:73], v[0:1], s[38:39], v[88:89]
	v_fma_f64 v[88:89], v[0:1], s[40:41], v[88:89]
	v_add_f64_e32 v[86:87], v[72:73], v[70:71]
	v_add_f64_e32 v[70:71], v[42:43], v[6:7]
	s_delay_alu instid0(VALU_DEP_3) | instskip(SKIP_1) | instid1(VALU_DEP_3)
	v_add_f64_e32 v[88:89], v[88:89], v[98:99]
	v_mul_f64_e32 v[98:99], s[20:21], v[112:113]
	v_fma_f64 v[72:73], v[70:71], s[36:37], v[90:91]
	v_fma_f64 v[90:91], v[70:71], s[36:37], -v[90:91]
	s_delay_alu instid0(VALU_DEP_2) | instskip(SKIP_1) | instid1(VALU_DEP_3)
	v_add_f64_e32 v[84:85], v[72:73], v[84:85]
	v_add_f64_e64 v[72:73], v[50:51], -v[22:23]
	v_add_f64_e32 v[90:91], v[90:91], v[100:101]
	v_mul_f64_e32 v[100:101], s[18:19], v[124:125]
	s_delay_alu instid0(VALU_DEP_3) | instskip(SKIP_1) | instid1(VALU_DEP_2)
	v_fma_f64 v[94:95], v[72:73], s[16:17], v[92:93]
	v_fma_f64 v[92:93], v[72:73], s[28:29], v[92:93]
	v_add_f64_e32 v[86:87], v[94:95], v[86:87]
	v_mul_f64_e32 v[94:95], s[28:29], v[126:127]
	s_delay_alu instid0(VALU_DEP_3) | instskip(NEXT) | instid1(VALU_DEP_2)
	v_add_f64_e32 v[88:89], v[92:93], v[88:89]
	v_fma_f64 v[96:97], v[128:129], s[4:5], v[94:95]
	v_fma_f64 v[92:93], v[128:129], s[4:5], -v[94:95]
	s_delay_alu instid0(VALU_DEP_2) | instskip(SKIP_1) | instid1(VALU_DEP_3)
	v_add_f64_e32 v[84:85], v[96:97], v[84:85]
	v_mul_f64_e32 v[96:97], s[18:19], v[130:131]
	v_add_f64_e32 v[90:91], v[92:93], v[90:91]
	s_delay_alu instid0(VALU_DEP_2) | instskip(SKIP_2) | instid1(VALU_DEP_3)
	v_fma_f64 v[134:135], v[132:133], s[34:35], v[96:97]
	v_fma_f64 v[92:93], v[132:133], s[22:23], v[96:97]
	v_mul_f64_e32 v[96:97], s[10:11], v[58:59]
	v_add_f64_e32 v[86:87], v[134:135], v[86:87]
	v_add_f64_e64 v[134:135], v[44:45], -v[32:33]
	s_delay_alu instid0(VALU_DEP_4) | instskip(NEXT) | instid1(VALU_DEP_2)
	v_add_f64_e32 v[88:89], v[92:93], v[88:89]
	v_mul_f64_e32 v[138:139], s[22:23], v[134:135]
	v_mul_f64_e32 v[176:177], s[16:17], v[134:135]
	s_delay_alu instid0(VALU_DEP_2) | instskip(SKIP_1) | instid1(VALU_DEP_2)
	v_fma_f64 v[140:141], v[136:137], s[18:19], v[138:139]
	v_fma_f64 v[92:93], v[136:137], s[18:19], -v[138:139]
	v_add_f64_e32 v[84:85], v[140:141], v[84:85]
	v_add_f64_e32 v[140:141], v[40:41], v[28:29]
	s_delay_alu instid0(VALU_DEP_3) | instskip(NEXT) | instid1(VALU_DEP_2)
	v_add_f64_e32 v[90:91], v[92:93], v[90:91]
	v_mul_f64_e32 v[144:145], s[8:9], v[140:141]
	v_mul_f64_e32 v[178:179], s[10:11], v[140:141]
	s_delay_alu instid0(VALU_DEP_2) | instskip(SKIP_1) | instid1(VALU_DEP_2)
	v_fma_f64 v[146:147], v[142:143], s[12:13], v[144:145]
	v_fma_f64 v[92:93], v[142:143], s[30:31], v[144:145]
	v_add_f64_e32 v[86:87], v[146:147], v[86:87]
	v_add_f64_e64 v[146:147], v[40:41], -v[28:29]
	s_delay_alu instid0(VALU_DEP_3) | instskip(NEXT) | instid1(VALU_DEP_2)
	v_add_f64_e32 v[88:89], v[92:93], v[88:89]
	v_mul_f64_e32 v[150:151], s[30:31], v[146:147]
	v_mul_f64_e32 v[180:181], s[20:21], v[146:147]
	s_delay_alu instid0(VALU_DEP_2) | instskip(SKIP_1) | instid1(VALU_DEP_2)
	v_fma_f64 v[152:153], v[148:149], s[8:9], v[150:151]
	v_fma_f64 v[92:93], v[148:149], s[8:9], -v[150:151]
	v_add_f64_e32 v[84:85], v[152:153], v[84:85]
	v_add_f64_e32 v[152:153], v[38:39], v[10:11]
	s_delay_alu instid0(VALU_DEP_3) | instskip(NEXT) | instid1(VALU_DEP_2)
	v_add_f64_e32 v[92:93], v[92:93], v[90:91]
	v_mul_f64_e32 v[156:157], s[10:11], v[152:153]
	v_mul_f64_e32 v[182:183], s[36:37], v[152:153]
	s_delay_alu instid0(VALU_DEP_2) | instskip(SKIP_1) | instid1(VALU_DEP_2)
	v_fma_f64 v[158:159], v[154:155], s[26:27], v[156:157]
	v_fma_f64 v[90:91], v[154:155], s[20:21], v[156:157]
	v_add_f64_e32 v[86:87], v[158:159], v[86:87]
	v_add_f64_e64 v[158:159], v[38:39], -v[10:11]
	s_delay_alu instid0(VALU_DEP_3) | instskip(NEXT) | instid1(VALU_DEP_2)
	v_add_f64_e32 v[90:91], v[90:91], v[88:89]
	v_mul_f64_e32 v[162:163], s[20:21], v[158:159]
	v_mul_f64_e32 v[184:185], s[40:41], v[158:159]
	s_delay_alu instid0(VALU_DEP_2) | instskip(SKIP_2) | instid1(VALU_DEP_3)
	v_fma_f64 v[94:95], v[160:161], s[10:11], -v[162:163]
	v_fma_f64 v[164:165], v[160:161], s[10:11], v[162:163]
	v_mul_f64_e32 v[162:163], s[8:9], v[152:153]
	v_add_f64_e32 v[88:89], v[94:95], v[92:93]
	v_fma_f64 v[92:93], v[0:1], s[26:27], v[96:97]
	v_fma_f64 v[94:95], v[70:71], s[10:11], v[98:99]
	;; [unrolled: 1-line block ×3, first 2 shown]
	v_fma_f64 v[98:99], v[70:71], s[10:11], -v[98:99]
	v_add_f64_e32 v[84:85], v[164:165], v[84:85]
	v_mul_f64_e32 v[164:165], s[30:31], v[158:159]
	v_add_f64_e32 v[92:93], v[92:93], v[114:115]
	v_add_f64_e32 v[94:95], v[94:95], v[102:103]
	v_fma_f64 v[102:103], v[72:73], s[22:23], v[100:101]
	v_add_f64_e32 v[96:97], v[96:97], v[116:117]
	v_fma_f64 v[100:101], v[72:73], s[34:35], v[100:101]
	v_add_f64_e32 v[98:99], v[98:99], v[118:119]
	v_mul_f64_e32 v[116:117], s[16:17], v[112:113]
	v_mul_f64_e32 v[118:119], s[36:37], v[124:125]
	v_add_f64_e32 v[92:93], v[102:103], v[92:93]
	v_mul_f64_e32 v[102:103], s[34:35], v[126:127]
	v_add_f64_e32 v[96:97], v[100:101], v[96:97]
	s_delay_alu instid0(VALU_DEP_2) | instskip(SKIP_2) | instid1(VALU_DEP_3)
	v_fma_f64 v[114:115], v[128:129], s[18:19], v[102:103]
	v_fma_f64 v[100:101], v[128:129], s[18:19], -v[102:103]
	v_fma_f64 v[102:103], v[160:161], s[8:9], -v[164:165]
	v_add_f64_e32 v[94:95], v[114:115], v[94:95]
	v_mul_f64_e32 v[114:115], s[0:1], v[130:131]
	s_delay_alu instid0(VALU_DEP_4) | instskip(NEXT) | instid1(VALU_DEP_2)
	v_add_f64_e32 v[98:99], v[100:101], v[98:99]
	v_fma_f64 v[138:139], v[132:133], s[24:25], v[114:115]
	v_fma_f64 v[100:101], v[132:133], s[14:15], v[114:115]
	v_mul_f64_e32 v[114:115], s[4:5], v[58:59]
	s_delay_alu instid0(VALU_DEP_3) | instskip(SKIP_1) | instid1(VALU_DEP_4)
	v_add_f64_e32 v[92:93], v[138:139], v[92:93]
	v_mul_f64_e32 v[138:139], s[14:15], v[134:135]
	v_add_f64_e32 v[96:97], v[100:101], v[96:97]
	s_delay_alu instid0(VALU_DEP_2) | instskip(SKIP_2) | instid1(VALU_DEP_3)
	v_fma_f64 v[144:145], v[136:137], s[0:1], v[138:139]
	v_fma_f64 v[100:101], v[136:137], s[0:1], -v[138:139]
	v_mul_f64_e32 v[138:139], s[10:11], v[130:131]
	v_add_f64_e32 v[94:95], v[144:145], v[94:95]
	v_mul_f64_e32 v[144:145], s[36:37], v[140:141]
	s_delay_alu instid0(VALU_DEP_4) | instskip(NEXT) | instid1(VALU_DEP_2)
	v_add_f64_e32 v[98:99], v[100:101], v[98:99]
	v_fma_f64 v[150:151], v[142:143], s[38:39], v[144:145]
	v_fma_f64 v[100:101], v[142:143], s[40:41], v[144:145]
	v_mul_f64_e32 v[144:145], s[26:27], v[134:135]
	s_delay_alu instid0(VALU_DEP_3) | instskip(SKIP_1) | instid1(VALU_DEP_4)
	v_add_f64_e32 v[92:93], v[150:151], v[92:93]
	v_mul_f64_e32 v[150:151], s[40:41], v[146:147]
	v_add_f64_e32 v[96:97], v[100:101], v[96:97]
	s_delay_alu instid0(VALU_DEP_2) | instskip(SKIP_2) | instid1(VALU_DEP_3)
	v_fma_f64 v[100:101], v[148:149], s[36:37], -v[150:151]
	v_fma_f64 v[156:157], v[148:149], s[36:37], v[150:151]
	v_mul_f64_e32 v[150:151], s[0:1], v[140:141]
	v_add_f64_e32 v[100:101], v[100:101], v[98:99]
	v_fma_f64 v[98:99], v[154:155], s[30:31], v[162:163]
	s_delay_alu instid0(VALU_DEP_4) | instskip(SKIP_2) | instid1(VALU_DEP_4)
	v_add_f64_e32 v[156:157], v[156:157], v[94:95]
	v_fma_f64 v[94:95], v[154:155], s[12:13], v[162:163]
	v_mul_f64_e32 v[162:163], s[18:19], v[152:153]
	v_add_f64_e32 v[98:99], v[98:99], v[96:97]
	v_add_f64_e32 v[96:97], v[102:103], v[100:101]
	v_fma_f64 v[100:101], v[0:1], s[28:29], v[114:115]
	v_fma_f64 v[102:103], v[70:71], s[4:5], v[116:117]
	v_add_f64_e32 v[94:95], v[94:95], v[92:93]
	v_fma_f64 v[92:93], v[160:161], s[8:9], v[164:165]
	v_mul_f64_e32 v[164:165], s[22:23], v[158:159]
	v_fma_f64 v[114:115], v[0:1], s[16:17], v[114:115]
	v_add_f64_e32 v[100:101], v[100:101], v[120:121]
	v_add_f64_e32 v[102:103], v[102:103], v[104:105]
	v_fma_f64 v[104:105], v[72:73], s[38:39], v[118:119]
	v_mul_f64_e32 v[120:121], s[40:41], v[126:127]
	v_add_f64_e32 v[92:93], v[92:93], v[156:157]
	v_mul_f64_e32 v[156:157], s[14:15], v[146:147]
	v_add_f64_e32 v[80:81], v[114:115], v[80:81]
	v_fma_f64 v[114:115], v[70:71], s[4:5], -v[116:117]
	v_fma_f64 v[116:117], v[160:161], s[18:19], -v[164:165]
	v_add_f64_e32 v[100:101], v[104:105], v[100:101]
	v_fma_f64 v[104:105], v[128:129], s[36:37], v[120:121]
	s_delay_alu instid0(VALU_DEP_4) | instskip(SKIP_2) | instid1(VALU_DEP_4)
	v_add_f64_e32 v[78:79], v[114:115], v[78:79]
	v_fma_f64 v[114:115], v[72:73], s[40:41], v[118:119]
	v_mul_f64_e32 v[118:119], s[26:27], v[126:127]
	v_add_f64_e32 v[102:103], v[104:105], v[102:103]
	v_fma_f64 v[104:105], v[132:133], s[20:21], v[138:139]
	s_delay_alu instid0(VALU_DEP_4) | instskip(SKIP_2) | instid1(VALU_DEP_4)
	v_add_f64_e32 v[80:81], v[114:115], v[80:81]
	v_fma_f64 v[114:115], v[128:129], s[36:37], -v[120:121]
	v_mul_f64_e32 v[120:121], s[8:9], v[130:131]
	v_add_f64_e32 v[100:101], v[104:105], v[100:101]
	v_fma_f64 v[104:105], v[136:137], s[10:11], v[144:145]
	s_delay_alu instid0(VALU_DEP_4) | instskip(SKIP_1) | instid1(VALU_DEP_3)
	v_add_f64_e32 v[78:79], v[114:115], v[78:79]
	v_fma_f64 v[114:115], v[132:133], s[26:27], v[138:139]
	v_add_f64_e32 v[102:103], v[104:105], v[102:103]
	v_fma_f64 v[104:105], v[142:143], s[24:25], v[150:151]
	s_delay_alu instid0(VALU_DEP_3) | instskip(SKIP_1) | instid1(VALU_DEP_3)
	v_add_f64_e32 v[80:81], v[114:115], v[80:81]
	v_fma_f64 v[114:115], v[136:137], s[10:11], -v[144:145]
	v_add_f64_e32 v[100:101], v[104:105], v[100:101]
	v_fma_f64 v[104:105], v[148:149], s[0:1], v[156:157]
	s_delay_alu instid0(VALU_DEP_3) | instskip(SKIP_1) | instid1(VALU_DEP_3)
	v_add_f64_e32 v[78:79], v[114:115], v[78:79]
	v_fma_f64 v[114:115], v[142:143], s[14:15], v[150:151]
	v_add_f64_e32 v[104:105], v[104:105], v[102:103]
	v_fma_f64 v[102:103], v[154:155], s[34:35], v[162:163]
	s_delay_alu instid0(VALU_DEP_3) | instskip(SKIP_1) | instid1(VALU_DEP_3)
	v_add_f64_e32 v[80:81], v[114:115], v[80:81]
	v_fma_f64 v[114:115], v[148:149], s[0:1], -v[156:157]
	v_add_f64_e32 v[102:103], v[102:103], v[100:101]
	v_fma_f64 v[100:101], v[160:161], s[18:19], v[164:165]
	s_delay_alu instid0(VALU_DEP_3) | instskip(SKIP_1) | instid1(VALU_DEP_3)
	v_add_f64_e32 v[78:79], v[114:115], v[78:79]
	v_fma_f64 v[114:115], v[154:155], s[22:23], v[162:163]
	v_add_f64_e32 v[100:101], v[100:101], v[104:105]
	v_fma_f64 v[104:105], v[0:1], s[30:31], v[166:167]
	s_delay_alu instid0(VALU_DEP_4) | instskip(NEXT) | instid1(VALU_DEP_4)
	v_add_f64_e32 v[78:79], v[116:117], v[78:79]
	v_add_f64_e32 v[80:81], v[114:115], v[80:81]
	v_fma_f64 v[114:115], v[0:1], s[14:15], v[186:187]
	s_delay_alu instid0(VALU_DEP_4) | instskip(SKIP_1) | instid1(VALU_DEP_3)
	v_add_f64_e32 v[104:105], v[104:105], v[106:107]
	v_fma_f64 v[106:107], v[70:71], s[8:9], -v[168:169]
	v_add_f64_e32 v[76:77], v[114:115], v[76:77]
	s_delay_alu instid0(VALU_DEP_2) | instskip(SKIP_1) | instid1(VALU_DEP_1)
	v_add_f64_e32 v[106:107], v[106:107], v[110:111]
	v_fma_f64 v[110:111], v[72:73], s[24:25], v[170:171]
	v_add_f64_e32 v[104:105], v[110:111], v[104:105]
	v_fma_f64 v[110:111], v[128:129], s[0:1], -v[172:173]
	s_delay_alu instid0(VALU_DEP_1) | instskip(SKIP_1) | instid1(VALU_DEP_1)
	v_add_f64_e32 v[106:107], v[110:111], v[106:107]
	v_fma_f64 v[110:111], v[132:133], s[16:17], v[174:175]
	v_add_f64_e32 v[104:105], v[110:111], v[104:105]
	v_fma_f64 v[110:111], v[136:137], s[4:5], -v[176:177]
	s_delay_alu instid0(VALU_DEP_1) | instskip(SKIP_1) | instid1(VALU_DEP_1)
	;; [unrolled: 5-line block ×4, first 2 shown]
	v_add_f64_e32 v[104:105], v[104:105], v[110:111]
	v_fma_f64 v[110:111], v[0:1], s[24:25], v[186:187]
	v_add_f64_e32 v[110:111], v[110:111], v[122:123]
	v_mul_f64_e32 v[122:123], s[24:25], v[112:113]
	v_mul_f64_e32 v[112:113], s[34:35], v[112:113]
	s_delay_alu instid0(VALU_DEP_2) | instskip(SKIP_2) | instid1(VALU_DEP_3)
	v_fma_f64 v[188:189], v[70:71], s[0:1], -v[122:123]
	v_fma_f64 v[114:115], v[70:71], s[0:1], v[122:123]
	v_mul_f64_e32 v[122:123], s[30:31], v[134:135]
	v_add_f64_e32 v[108:109], v[188:189], v[108:109]
	v_mul_f64_e32 v[188:189], s[8:9], v[124:125]
	s_delay_alu instid0(VALU_DEP_4) | instskip(NEXT) | instid1(VALU_DEP_2)
	v_add_f64_e32 v[74:75], v[114:115], v[74:75]
	v_fma_f64 v[190:191], v[72:73], s[12:13], v[188:189]
	v_fma_f64 v[114:115], v[72:73], s[30:31], v[188:189]
	s_delay_alu instid0(VALU_DEP_2) | instskip(SKIP_1) | instid1(VALU_DEP_3)
	v_add_f64_e32 v[110:111], v[190:191], v[110:111]
	v_mul_f64_e32 v[190:191], s[12:13], v[126:127]
	v_add_f64_e32 v[76:77], v[114:115], v[76:77]
	v_mul_f64_e32 v[126:127], s[28:29], v[146:147]
	s_delay_alu instid0(VALU_DEP_3) | instskip(SKIP_1) | instid1(VALU_DEP_2)
	v_fma_f64 v[192:193], v[128:129], s[8:9], -v[190:191]
	v_fma_f64 v[114:115], v[128:129], s[8:9], v[190:191]
	v_add_f64_e32 v[108:109], v[192:193], v[108:109]
	v_mul_f64_e32 v[192:193], s[36:37], v[130:131]
	s_delay_alu instid0(VALU_DEP_3) | instskip(SKIP_1) | instid1(VALU_DEP_3)
	v_add_f64_e32 v[74:75], v[114:115], v[74:75]
	v_mul_f64_e32 v[130:131], s[0:1], v[152:153]
	v_fma_f64 v[194:195], v[132:133], s[40:41], v[192:193]
	v_fma_f64 v[114:115], v[132:133], s[38:39], v[192:193]
	s_delay_alu instid0(VALU_DEP_2) | instskip(SKIP_1) | instid1(VALU_DEP_3)
	v_add_f64_e32 v[110:111], v[194:195], v[110:111]
	v_mul_f64_e32 v[194:195], s[40:41], v[134:135]
	v_add_f64_e32 v[76:77], v[114:115], v[76:77]
	v_mul_f64_e32 v[134:135], s[24:25], v[158:159]
	s_delay_alu instid0(VALU_DEP_3) | instskip(SKIP_1) | instid1(VALU_DEP_2)
	v_fma_f64 v[196:197], v[136:137], s[36:37], -v[194:195]
	v_fma_f64 v[114:115], v[136:137], s[36:37], v[194:195]
	v_add_f64_e32 v[108:109], v[196:197], v[108:109]
	v_mul_f64_e32 v[196:197], s[18:19], v[140:141]
	s_delay_alu instid0(VALU_DEP_3) | instskip(NEXT) | instid1(VALU_DEP_2)
	v_add_f64_e32 v[74:75], v[114:115], v[74:75]
	v_fma_f64 v[198:199], v[142:143], s[34:35], v[196:197]
	v_fma_f64 v[114:115], v[142:143], s[22:23], v[196:197]
	s_delay_alu instid0(VALU_DEP_2) | instskip(SKIP_1) | instid1(VALU_DEP_3)
	v_add_f64_e32 v[110:111], v[198:199], v[110:111]
	v_mul_f64_e32 v[198:199], s[34:35], v[146:147]
	v_add_f64_e32 v[76:77], v[114:115], v[76:77]
	s_delay_alu instid0(VALU_DEP_2) | instskip(SKIP_1) | instid1(VALU_DEP_2)
	v_fma_f64 v[200:201], v[148:149], s[18:19], -v[198:199]
	v_fma_f64 v[114:115], v[148:149], s[18:19], v[198:199]
	v_add_f64_e32 v[108:109], v[200:201], v[108:109]
	v_mul_f64_e32 v[200:201], s[4:5], v[152:153]
	s_delay_alu instid0(VALU_DEP_3) | instskip(NEXT) | instid1(VALU_DEP_2)
	v_add_f64_e32 v[74:75], v[114:115], v[74:75]
	v_fma_f64 v[114:115], v[154:155], s[16:17], v[200:201]
	v_fma_f64 v[202:203], v[154:155], s[28:29], v[200:201]
	s_delay_alu instid0(VALU_DEP_2) | instskip(SKIP_1) | instid1(VALU_DEP_3)
	v_add_f64_e32 v[76:77], v[114:115], v[76:77]
	v_fma_f64 v[114:115], v[0:1], s[12:13], v[166:167]
	v_add_f64_e32 v[110:111], v[202:203], v[110:111]
	v_mul_f64_e32 v[202:203], s[28:29], v[158:159]
	s_delay_alu instid0(VALU_DEP_3) | instskip(SKIP_1) | instid1(VALU_DEP_3)
	v_add_f64_e32 v[68:69], v[114:115], v[68:69]
	v_fma_f64 v[114:115], v[70:71], s[8:9], v[168:169]
	v_fma_f64 v[116:117], v[160:161], s[4:5], v[202:203]
	v_fma_f64 v[204:205], v[160:161], s[4:5], -v[202:203]
	s_delay_alu instid0(VALU_DEP_3) | instskip(SKIP_1) | instid1(VALU_DEP_4)
	v_add_f64_e32 v[66:67], v[114:115], v[66:67]
	v_fma_f64 v[114:115], v[72:73], s[14:15], v[170:171]
	v_add_f64_e32 v[74:75], v[116:117], v[74:75]
	v_fma_f64 v[116:117], v[160:161], s[36:37], v[184:185]
	v_add_f64_e32 v[108:109], v[204:205], v[108:109]
	s_delay_alu instid0(VALU_DEP_4) | instskip(SKIP_1) | instid1(VALU_DEP_1)
	v_add_f64_e32 v[68:69], v[114:115], v[68:69]
	v_fma_f64 v[114:115], v[128:129], s[0:1], v[172:173]
	v_add_f64_e32 v[66:67], v[114:115], v[66:67]
	v_fma_f64 v[114:115], v[132:133], s[28:29], v[174:175]
	s_delay_alu instid0(VALU_DEP_1) | instskip(SKIP_1) | instid1(VALU_DEP_1)
	v_add_f64_e32 v[68:69], v[114:115], v[68:69]
	v_fma_f64 v[114:115], v[136:137], s[4:5], v[176:177]
	v_add_f64_e32 v[66:67], v[114:115], v[66:67]
	v_fma_f64 v[114:115], v[142:143], s[26:27], v[178:179]
	s_delay_alu instid0(VALU_DEP_1) | instskip(SKIP_1) | instid1(VALU_DEP_1)
	v_add_f64_e32 v[68:69], v[114:115], v[68:69]
	v_fma_f64 v[114:115], v[148:149], s[10:11], v[180:181]
	v_add_f64_e32 v[66:67], v[114:115], v[66:67]
	v_fma_f64 v[114:115], v[154:155], s[38:39], v[182:183]
	s_delay_alu instid0(VALU_DEP_2) | instskip(NEXT) | instid1(VALU_DEP_2)
	v_add_f64_e32 v[66:67], v[116:117], v[66:67]
	v_add_f64_e32 v[68:69], v[114:115], v[68:69]
	v_mul_f64_e32 v[114:115], s[18:19], v[58:59]
	v_mul_f64_e32 v[116:117], s[10:11], v[124:125]
	;; [unrolled: 1-line block ×3, first 2 shown]
	s_delay_alu instid0(VALU_DEP_3) | instskip(SKIP_1) | instid1(VALU_DEP_2)
	v_fma_f64 v[58:59], v[0:1], s[34:35], v[114:115]
	v_fma_f64 v[0:1], v[0:1], s[22:23], v[114:115]
	v_add_f64_e32 v[56:57], v[58:59], v[56:57]
	v_fma_f64 v[58:59], v[70:71], s[18:19], -v[112:113]
	s_delay_alu instid0(VALU_DEP_3) | instskip(NEXT) | instid1(VALU_DEP_2)
	v_add_f64_e32 v[0:1], v[0:1], v[52:53]
	v_add_f64_e32 v[2:3], v[58:59], v[2:3]
	v_fma_f64 v[58:59], v[72:73], s[26:27], v[116:117]
	s_delay_alu instid0(VALU_DEP_1) | instskip(SKIP_1) | instid1(VALU_DEP_1)
	v_add_f64_e32 v[56:57], v[58:59], v[56:57]
	v_fma_f64 v[58:59], v[128:129], s[10:11], -v[118:119]
	v_add_f64_e32 v[2:3], v[58:59], v[2:3]
	v_fma_f64 v[58:59], v[132:133], s[30:31], v[120:121]
	s_delay_alu instid0(VALU_DEP_1) | instskip(SKIP_1) | instid1(VALU_DEP_1)
	v_add_f64_e32 v[56:57], v[58:59], v[56:57]
	v_fma_f64 v[58:59], v[136:137], s[8:9], -v[122:123]
	;; [unrolled: 5-line block ×4, first 2 shown]
	v_add_f64_e32 v[56:57], v[56:57], v[2:3]
	v_add_f64_e32 v[2:3], v[16:17], v[14:15]
	;; [unrolled: 1-line block ×3, first 2 shown]
	s_delay_alu instid0(VALU_DEP_2) | instskip(NEXT) | instid1(VALU_DEP_2)
	v_add_f64_e32 v[2:3], v[2:3], v[48:49]
	v_add_f64_e32 v[14:15], v[14:15], v[50:51]
	s_delay_alu instid0(VALU_DEP_2) | instskip(NEXT) | instid1(VALU_DEP_2)
	v_add_f64_e32 v[2:3], v[2:3], v[44:45]
	v_add_f64_e32 v[14:15], v[14:15], v[46:47]
	;; [unrolled: 3-line block ×4, first 2 shown]
	v_fma_f64 v[14:15], v[136:137], s[8:9], v[122:123]
	s_delay_alu instid0(VALU_DEP_3) | instskip(NEXT) | instid1(VALU_DEP_3)
	v_add_f64_e32 v[2:3], v[2:3], v[10:11]
	v_add_f64_e32 v[8:9], v[8:9], v[12:13]
	v_fma_f64 v[10:11], v[128:129], s[10:11], v[118:119]
	v_fma_f64 v[12:13], v[132:133], s[12:13], v[120:121]
	s_delay_alu instid0(VALU_DEP_4) | instskip(NEXT) | instid1(VALU_DEP_4)
	v_add_f64_e32 v[2:3], v[2:3], v[28:29]
	v_add_f64_e32 v[8:9], v[8:9], v[36:37]
	s_delay_alu instid0(VALU_DEP_2) | instskip(NEXT) | instid1(VALU_DEP_2)
	v_add_f64_e32 v[2:3], v[2:3], v[32:33]
	v_add_f64_e32 v[8:9], v[8:9], v[34:35]
	s_delay_alu instid0(VALU_DEP_2) | instskip(NEXT) | instid1(VALU_DEP_2)
	;; [unrolled: 3-line block ×3, first 2 shown]
	v_add_f64_e32 v[2:3], v[2:3], v[4:5]
	v_add_f64_e32 v[6:7], v[8:9], v[6:7]
	v_fma_f64 v[8:9], v[72:73], s[20:21], v[116:117]
	s_delay_alu instid0(VALU_DEP_3) | instskip(NEXT) | instid1(VALU_DEP_3)
	v_add_f64_e32 v[4:5], v[2:3], v[24:25]
	v_add_f64_e32 v[2:3], v[6:7], v[26:27]
	v_fma_f64 v[6:7], v[70:71], s[18:19], v[112:113]
	s_delay_alu instid0(VALU_DEP_4) | instskip(SKIP_1) | instid1(VALU_DEP_3)
	v_add_f64_e32 v[0:1], v[8:9], v[0:1]
	v_fma_f64 v[8:9], v[142:143], s[16:17], v[124:125]
	v_add_f64_e32 v[6:7], v[6:7], v[54:55]
	s_delay_alu instid0(VALU_DEP_3) | instskip(SKIP_1) | instid1(VALU_DEP_3)
	v_add_f64_e32 v[0:1], v[12:13], v[0:1]
	v_fma_f64 v[12:13], v[154:155], s[14:15], v[130:131]
	v_add_f64_e32 v[6:7], v[10:11], v[6:7]
	v_fma_f64 v[10:11], v[148:149], s[4:5], v[126:127]
	s_delay_alu instid0(VALU_DEP_4) | instskip(NEXT) | instid1(VALU_DEP_3)
	v_add_f64_e32 v[0:1], v[8:9], v[0:1]
	v_add_f64_e32 v[6:7], v[14:15], v[6:7]
	v_fma_f64 v[14:15], v[160:161], s[0:1], v[134:135]
	s_delay_alu instid0(VALU_DEP_3) | instskip(NEXT) | instid1(VALU_DEP_3)
	v_add_f64_e32 v[8:9], v[12:13], v[0:1]
	v_add_f64_e32 v[6:7], v[10:11], v[6:7]
	s_delay_alu instid0(VALU_DEP_1)
	v_add_f64_e32 v[6:7], v[14:15], v[6:7]
	ds_store_b128 v63, v[104:107] offset:384
	ds_store_b128 v63, v[108:111] offset:576
	;; [unrolled: 1-line block ×11, first 2 shown]
	ds_store_b128 v83, v[2:5]
	ds_store_b128 v63, v[6:9] offset:2304
.LBB0_22:
	s_or_b32 exec_lo, exec_lo, s33
	global_wb scope:SCOPE_SE
	s_wait_dscnt 0x0
	s_barrier_signal -1
	s_barrier_wait -1
	global_inv scope:SCOPE_SE
	s_and_saveexec_b32 s0, vcc_lo
	s_cbranch_execz .LBB0_24
; %bb.23:
	v_mul_lo_u32 v2, s3, v64
	v_mul_lo_u32 v3, s2, v65
	v_mad_co_u64_u32 v[0:1], null, s2, v64, 0
	v_lshl_add_u32 v34, v62, 4, v82
	v_dual_mov_b32 v63, 0 :: v_dual_add_nc_u32 v12, 13, v62
	v_lshlrev_b64_e32 v[8:9], 4, v[60:61]
	v_add_nc_u32_e32 v22, 0x41, v62
	s_delay_alu instid0(VALU_DEP_3) | instskip(SKIP_4) | instid1(VALU_DEP_4)
	v_dual_mov_b32 v25, v63 :: v_dual_add_nc_u32 v24, 0x4e, v62
	v_add3_u32 v1, v1, v3, v2
	v_mov_b32_e32 v13, v63
	v_lshlrev_b64_e32 v[14:15], 4, v[62:63]
	v_mov_b32_e32 v23, v63
	v_lshlrev_b64_e32 v[10:11], 4, v[0:1]
	ds_load_b128 v[0:3], v34
	ds_load_b128 v[4:7], v34 offset:208
	v_lshlrev_b64_e32 v[22:23], 4, v[22:23]
	v_add_co_u32 v10, vcc_lo, s6, v10
	s_wait_alu 0xfffd
	v_add_co_ci_u32_e32 v11, vcc_lo, s7, v11, vcc_lo
	s_delay_alu instid0(VALU_DEP_2) | instskip(SKIP_1) | instid1(VALU_DEP_2)
	v_add_co_u32 v36, vcc_lo, v10, v8
	s_wait_alu 0xfffd
	v_add_co_ci_u32_e32 v37, vcc_lo, v11, v9, vcc_lo
	v_lshlrev_b64_e32 v[8:9], 4, v[12:13]
	v_add_nc_u32_e32 v12, 26, v62
	v_add_co_u32 v10, vcc_lo, v36, v14
	s_wait_alu 0xfffd
	v_add_co_ci_u32_e32 v11, vcc_lo, v37, v15, vcc_lo
	s_delay_alu instid0(VALU_DEP_4)
	v_add_co_u32 v8, vcc_lo, v36, v8
	s_wait_alu 0xfffd
	v_add_co_ci_u32_e32 v9, vcc_lo, v37, v9, vcc_lo
	s_wait_dscnt 0x1
	global_store_b128 v[10:11], v[0:3], off
	s_wait_dscnt 0x0
	global_store_b128 v[8:9], v[4:7], off
	v_lshlrev_b64_e32 v[0:1], 4, v[12:13]
	v_dual_mov_b32 v9, v63 :: v_dual_add_nc_u32 v8, 39, v62
	v_dual_mov_b32 v11, v63 :: v_dual_add_nc_u32 v10, 52, v62
	s_delay_alu instid0(VALU_DEP_3) | instskip(SKIP_1) | instid1(VALU_DEP_4)
	v_add_co_u32 v16, vcc_lo, v36, v0
	s_wait_alu 0xfffd
	v_add_co_ci_u32_e32 v17, vcc_lo, v37, v1, vcc_lo
	ds_load_b128 v[0:3], v34 offset:416
	ds_load_b128 v[4:7], v34 offset:624
	v_lshlrev_b64_e32 v[18:19], 4, v[8:9]
	v_lshlrev_b64_e32 v[20:21], 4, v[10:11]
	ds_load_b128 v[8:11], v34 offset:832
	ds_load_b128 v[12:15], v34 offset:1040
	v_add_co_u32 v18, vcc_lo, v36, v18
	s_wait_alu 0xfffd
	v_add_co_ci_u32_e32 v19, vcc_lo, v37, v19, vcc_lo
	v_add_co_u32 v20, vcc_lo, v36, v20
	s_wait_alu 0xfffd
	v_add_co_ci_u32_e32 v21, vcc_lo, v37, v21, vcc_lo
	v_add_co_u32 v22, vcc_lo, v36, v22
	s_wait_dscnt 0x3
	global_store_b128 v[16:17], v[0:3], off
	s_wait_dscnt 0x2
	global_store_b128 v[18:19], v[4:7], off
	v_dual_mov_b32 v3, v63 :: v_dual_add_nc_u32 v2, 0x5b, v62
	s_wait_alu 0xfffd
	v_add_co_ci_u32_e32 v23, vcc_lo, v37, v23, vcc_lo
	v_lshlrev_b64_e32 v[0:1], 4, v[24:25]
	s_wait_dscnt 0x1
	global_store_b128 v[20:21], v[8:11], off
	s_wait_dscnt 0x0
	global_store_b128 v[22:23], v[12:15], off
	v_lshlrev_b64_e32 v[8:9], 4, v[2:3]
	v_dual_mov_b32 v11, v63 :: v_dual_add_nc_u32 v10, 0x68, v62
	v_add_co_u32 v24, vcc_lo, v36, v0
	s_wait_alu 0xfffd
	v_add_co_ci_u32_e32 v25, vcc_lo, v37, v1, vcc_lo
	s_delay_alu instid0(VALU_DEP_4)
	v_add_co_u32 v26, vcc_lo, v36, v8
	s_wait_alu 0xfffd
	v_add_co_ci_u32_e32 v27, vcc_lo, v37, v9, vcc_lo
	v_lshlrev_b64_e32 v[8:9], 4, v[10:11]
	v_dual_mov_b32 v17, v63 :: v_dual_add_nc_u32 v16, 0x75, v62
	v_dual_mov_b32 v19, v63 :: v_dual_add_nc_u32 v18, 0x82, v62
	ds_load_b128 v[0:3], v34 offset:1248
	ds_load_b128 v[4:7], v34 offset:1456
	v_add_co_u32 v28, vcc_lo, v36, v8
	s_wait_alu 0xfffd
	v_add_co_ci_u32_e32 v29, vcc_lo, v37, v9, vcc_lo
	ds_load_b128 v[8:11], v34 offset:1664
	ds_load_b128 v[12:15], v34 offset:1872
	v_lshlrev_b64_e32 v[30:31], 4, v[16:17]
	v_lshlrev_b64_e32 v[32:33], 4, v[18:19]
	ds_load_b128 v[16:19], v34 offset:2080
	ds_load_b128 v[20:23], v34 offset:2288
	v_add_nc_u32_e32 v62, 0x8f, v62
	v_add_co_u32 v30, vcc_lo, v36, v30
	s_delay_alu instid0(VALU_DEP_2)
	v_lshlrev_b64_e32 v[34:35], 4, v[62:63]
	s_wait_alu 0xfffd
	v_add_co_ci_u32_e32 v31, vcc_lo, v37, v31, vcc_lo
	v_add_co_u32 v32, vcc_lo, v36, v32
	s_wait_alu 0xfffd
	v_add_co_ci_u32_e32 v33, vcc_lo, v37, v33, vcc_lo
	v_add_co_u32 v34, vcc_lo, v36, v34
	s_wait_alu 0xfffd
	v_add_co_ci_u32_e32 v35, vcc_lo, v37, v35, vcc_lo
	s_wait_dscnt 0x5
	global_store_b128 v[24:25], v[0:3], off
	s_wait_dscnt 0x4
	global_store_b128 v[26:27], v[4:7], off
	;; [unrolled: 2-line block ×6, first 2 shown]
.LBB0_24:
	s_nop 0
	s_sendmsg sendmsg(MSG_DEALLOC_VGPRS)
	s_endpgm
	.section	.rodata,"a",@progbits
	.p2align	6, 0x0
	.amdhsa_kernel fft_rtc_fwd_len156_factors_3_4_13_wgs_117_tpt_13_dp_op_CI_CI_unitstride_sbrr_C2R_dirReg
		.amdhsa_group_segment_fixed_size 0
		.amdhsa_private_segment_fixed_size 0
		.amdhsa_kernarg_size 104
		.amdhsa_user_sgpr_count 2
		.amdhsa_user_sgpr_dispatch_ptr 0
		.amdhsa_user_sgpr_queue_ptr 0
		.amdhsa_user_sgpr_kernarg_segment_ptr 1
		.amdhsa_user_sgpr_dispatch_id 0
		.amdhsa_user_sgpr_private_segment_size 0
		.amdhsa_wavefront_size32 1
		.amdhsa_uses_dynamic_stack 0
		.amdhsa_enable_private_segment 0
		.amdhsa_system_sgpr_workgroup_id_x 1
		.amdhsa_system_sgpr_workgroup_id_y 0
		.amdhsa_system_sgpr_workgroup_id_z 0
		.amdhsa_system_sgpr_workgroup_info 0
		.amdhsa_system_vgpr_workitem_id 0
		.amdhsa_next_free_vgpr 206
		.amdhsa_next_free_sgpr 42
		.amdhsa_reserve_vcc 1
		.amdhsa_float_round_mode_32 0
		.amdhsa_float_round_mode_16_64 0
		.amdhsa_float_denorm_mode_32 3
		.amdhsa_float_denorm_mode_16_64 3
		.amdhsa_fp16_overflow 0
		.amdhsa_workgroup_processor_mode 1
		.amdhsa_memory_ordered 1
		.amdhsa_forward_progress 0
		.amdhsa_round_robin_scheduling 0
		.amdhsa_exception_fp_ieee_invalid_op 0
		.amdhsa_exception_fp_denorm_src 0
		.amdhsa_exception_fp_ieee_div_zero 0
		.amdhsa_exception_fp_ieee_overflow 0
		.amdhsa_exception_fp_ieee_underflow 0
		.amdhsa_exception_fp_ieee_inexact 0
		.amdhsa_exception_int_div_zero 0
	.end_amdhsa_kernel
	.text
.Lfunc_end0:
	.size	fft_rtc_fwd_len156_factors_3_4_13_wgs_117_tpt_13_dp_op_CI_CI_unitstride_sbrr_C2R_dirReg, .Lfunc_end0-fft_rtc_fwd_len156_factors_3_4_13_wgs_117_tpt_13_dp_op_CI_CI_unitstride_sbrr_C2R_dirReg
                                        ; -- End function
	.section	.AMDGPU.csdata,"",@progbits
; Kernel info:
; codeLenInByte = 9636
; NumSgprs: 44
; NumVgprs: 206
; ScratchSize: 0
; MemoryBound: 0
; FloatMode: 240
; IeeeMode: 1
; LDSByteSize: 0 bytes/workgroup (compile time only)
; SGPRBlocks: 5
; VGPRBlocks: 25
; NumSGPRsForWavesPerEU: 44
; NumVGPRsForWavesPerEU: 206
; Occupancy: 7
; WaveLimiterHint : 1
; COMPUTE_PGM_RSRC2:SCRATCH_EN: 0
; COMPUTE_PGM_RSRC2:USER_SGPR: 2
; COMPUTE_PGM_RSRC2:TRAP_HANDLER: 0
; COMPUTE_PGM_RSRC2:TGID_X_EN: 1
; COMPUTE_PGM_RSRC2:TGID_Y_EN: 0
; COMPUTE_PGM_RSRC2:TGID_Z_EN: 0
; COMPUTE_PGM_RSRC2:TIDIG_COMP_CNT: 0
	.text
	.p2alignl 7, 3214868480
	.fill 96, 4, 3214868480
	.type	__hip_cuid_82dec84267fa8c49,@object ; @__hip_cuid_82dec84267fa8c49
	.section	.bss,"aw",@nobits
	.globl	__hip_cuid_82dec84267fa8c49
__hip_cuid_82dec84267fa8c49:
	.byte	0                               ; 0x0
	.size	__hip_cuid_82dec84267fa8c49, 1

	.ident	"AMD clang version 19.0.0git (https://github.com/RadeonOpenCompute/llvm-project roc-6.4.0 25133 c7fe45cf4b819c5991fe208aaa96edf142730f1d)"
	.section	".note.GNU-stack","",@progbits
	.addrsig
	.addrsig_sym __hip_cuid_82dec84267fa8c49
	.amdgpu_metadata
---
amdhsa.kernels:
  - .args:
      - .actual_access:  read_only
        .address_space:  global
        .offset:         0
        .size:           8
        .value_kind:     global_buffer
      - .offset:         8
        .size:           8
        .value_kind:     by_value
      - .actual_access:  read_only
        .address_space:  global
        .offset:         16
        .size:           8
        .value_kind:     global_buffer
      - .actual_access:  read_only
        .address_space:  global
        .offset:         24
        .size:           8
        .value_kind:     global_buffer
      - .actual_access:  read_only
        .address_space:  global
        .offset:         32
        .size:           8
        .value_kind:     global_buffer
      - .offset:         40
        .size:           8
        .value_kind:     by_value
      - .actual_access:  read_only
        .address_space:  global
        .offset:         48
        .size:           8
        .value_kind:     global_buffer
      - .actual_access:  read_only
        .address_space:  global
        .offset:         56
        .size:           8
        .value_kind:     global_buffer
      - .offset:         64
        .size:           4
        .value_kind:     by_value
      - .actual_access:  read_only
        .address_space:  global
        .offset:         72
        .size:           8
        .value_kind:     global_buffer
      - .actual_access:  read_only
        .address_space:  global
        .offset:         80
        .size:           8
        .value_kind:     global_buffer
      - .actual_access:  read_only
        .address_space:  global
        .offset:         88
        .size:           8
        .value_kind:     global_buffer
      - .actual_access:  write_only
        .address_space:  global
        .offset:         96
        .size:           8
        .value_kind:     global_buffer
    .group_segment_fixed_size: 0
    .kernarg_segment_align: 8
    .kernarg_segment_size: 104
    .language:       OpenCL C
    .language_version:
      - 2
      - 0
    .max_flat_workgroup_size: 117
    .name:           fft_rtc_fwd_len156_factors_3_4_13_wgs_117_tpt_13_dp_op_CI_CI_unitstride_sbrr_C2R_dirReg
    .private_segment_fixed_size: 0
    .sgpr_count:     44
    .sgpr_spill_count: 0
    .symbol:         fft_rtc_fwd_len156_factors_3_4_13_wgs_117_tpt_13_dp_op_CI_CI_unitstride_sbrr_C2R_dirReg.kd
    .uniform_work_group_size: 1
    .uses_dynamic_stack: false
    .vgpr_count:     206
    .vgpr_spill_count: 0
    .wavefront_size: 32
    .workgroup_processor_mode: 1
amdhsa.target:   amdgcn-amd-amdhsa--gfx1201
amdhsa.version:
  - 1
  - 2
...

	.end_amdgpu_metadata
